;; amdgpu-corpus repo=ROCm/rocFFT kind=compiled arch=gfx1201 opt=O3
	.text
	.amdgcn_target "amdgcn-amd-amdhsa--gfx1201"
	.amdhsa_code_object_version 6
	.protected	fft_rtc_fwd_len4050_factors_10_5_3_3_3_3_wgs_135_tpt_135_halfLds_sp_ip_CI_sbrr_dirReg ; -- Begin function fft_rtc_fwd_len4050_factors_10_5_3_3_3_3_wgs_135_tpt_135_halfLds_sp_ip_CI_sbrr_dirReg
	.globl	fft_rtc_fwd_len4050_factors_10_5_3_3_3_3_wgs_135_tpt_135_halfLds_sp_ip_CI_sbrr_dirReg
	.p2align	8
	.type	fft_rtc_fwd_len4050_factors_10_5_3_3_3_3_wgs_135_tpt_135_halfLds_sp_ip_CI_sbrr_dirReg,@function
fft_rtc_fwd_len4050_factors_10_5_3_3_3_3_wgs_135_tpt_135_halfLds_sp_ip_CI_sbrr_dirReg: ; @fft_rtc_fwd_len4050_factors_10_5_3_3_3_3_wgs_135_tpt_135_halfLds_sp_ip_CI_sbrr_dirReg
; %bb.0:
	s_clause 0x2
	s_load_b64 s[12:13], s[0:1], 0x18
	s_load_b128 s[4:7], s[0:1], 0x0
	s_load_b64 s[10:11], s[0:1], 0x50
	v_mul_u32_u24_e32 v1, 0x1e6, v0
	v_mov_b32_e32 v3, 0
	s_delay_alu instid0(VALU_DEP_2) | instskip(NEXT) | instid1(VALU_DEP_1)
	v_lshrrev_b32_e32 v1, 16, v1
	v_add_nc_u32_e32 v5, ttmp9, v1
	v_mov_b32_e32 v1, 0
	v_mov_b32_e32 v2, 0
	;; [unrolled: 1-line block ×3, first 2 shown]
	s_wait_kmcnt 0x0
	s_load_b64 s[8:9], s[12:13], 0x0
	v_cmp_lt_u64_e64 s2, s[6:7], 2
	s_delay_alu instid0(VALU_DEP_1)
	s_and_b32 vcc_lo, exec_lo, s2
	s_cbranch_vccnz .LBB0_8
; %bb.1:
	s_load_b64 s[2:3], s[0:1], 0x10
	v_mov_b32_e32 v1, 0
	v_mov_b32_e32 v2, 0
	s_add_nc_u64 s[14:15], s[12:13], 8
	s_mov_b64 s[16:17], 1
	s_wait_kmcnt 0x0
	s_add_nc_u64 s[18:19], s[2:3], 8
	s_mov_b32 s3, 0
.LBB0_2:                                ; =>This Inner Loop Header: Depth=1
	s_load_b64 s[20:21], s[18:19], 0x0
                                        ; implicit-def: $vgpr7_vgpr8
	s_mov_b32 s2, exec_lo
	s_wait_kmcnt 0x0
	v_or_b32_e32 v4, s21, v6
	s_delay_alu instid0(VALU_DEP_1)
	v_cmpx_ne_u64_e32 0, v[3:4]
	s_wait_alu 0xfffe
	s_xor_b32 s22, exec_lo, s2
	s_cbranch_execz .LBB0_4
; %bb.3:                                ;   in Loop: Header=BB0_2 Depth=1
	s_cvt_f32_u32 s2, s20
	s_cvt_f32_u32 s23, s21
	s_sub_nc_u64 s[26:27], 0, s[20:21]
	s_wait_alu 0xfffe
	s_delay_alu instid0(SALU_CYCLE_1) | instskip(SKIP_1) | instid1(SALU_CYCLE_2)
	s_fmamk_f32 s2, s23, 0x4f800000, s2
	s_wait_alu 0xfffe
	v_s_rcp_f32 s2, s2
	s_delay_alu instid0(TRANS32_DEP_1) | instskip(SKIP_1) | instid1(SALU_CYCLE_2)
	s_mul_f32 s2, s2, 0x5f7ffffc
	s_wait_alu 0xfffe
	s_mul_f32 s23, s2, 0x2f800000
	s_wait_alu 0xfffe
	s_delay_alu instid0(SALU_CYCLE_2) | instskip(SKIP_1) | instid1(SALU_CYCLE_2)
	s_trunc_f32 s23, s23
	s_wait_alu 0xfffe
	s_fmamk_f32 s2, s23, 0xcf800000, s2
	s_cvt_u32_f32 s25, s23
	s_wait_alu 0xfffe
	s_delay_alu instid0(SALU_CYCLE_1) | instskip(SKIP_1) | instid1(SALU_CYCLE_2)
	s_cvt_u32_f32 s24, s2
	s_wait_alu 0xfffe
	s_mul_u64 s[28:29], s[26:27], s[24:25]
	s_wait_alu 0xfffe
	s_mul_hi_u32 s31, s24, s29
	s_mul_i32 s30, s24, s29
	s_mul_hi_u32 s2, s24, s28
	s_mul_i32 s33, s25, s28
	s_wait_alu 0xfffe
	s_add_nc_u64 s[30:31], s[2:3], s[30:31]
	s_mul_hi_u32 s23, s25, s28
	s_mul_hi_u32 s34, s25, s29
	s_add_co_u32 s2, s30, s33
	s_wait_alu 0xfffe
	s_add_co_ci_u32 s2, s31, s23
	s_mul_i32 s28, s25, s29
	s_add_co_ci_u32 s29, s34, 0
	s_wait_alu 0xfffe
	s_add_nc_u64 s[28:29], s[2:3], s[28:29]
	s_wait_alu 0xfffe
	v_add_co_u32 v4, s2, s24, s28
	s_delay_alu instid0(VALU_DEP_1) | instskip(SKIP_1) | instid1(VALU_DEP_1)
	s_cmp_lg_u32 s2, 0
	s_add_co_ci_u32 s25, s25, s29
	v_readfirstlane_b32 s24, v4
	s_wait_alu 0xfffe
	s_delay_alu instid0(VALU_DEP_1)
	s_mul_u64 s[26:27], s[26:27], s[24:25]
	s_wait_alu 0xfffe
	s_mul_hi_u32 s29, s24, s27
	s_mul_i32 s28, s24, s27
	s_mul_hi_u32 s2, s24, s26
	s_mul_i32 s30, s25, s26
	s_wait_alu 0xfffe
	s_add_nc_u64 s[28:29], s[2:3], s[28:29]
	s_mul_hi_u32 s23, s25, s26
	s_mul_hi_u32 s24, s25, s27
	s_wait_alu 0xfffe
	s_add_co_u32 s2, s28, s30
	s_add_co_ci_u32 s2, s29, s23
	s_mul_i32 s26, s25, s27
	s_add_co_ci_u32 s27, s24, 0
	s_wait_alu 0xfffe
	s_add_nc_u64 s[26:27], s[2:3], s[26:27]
	s_wait_alu 0xfffe
	v_add_co_u32 v4, s2, v4, s26
	s_delay_alu instid0(VALU_DEP_1) | instskip(SKIP_1) | instid1(VALU_DEP_1)
	s_cmp_lg_u32 s2, 0
	s_add_co_ci_u32 s2, s25, s27
	v_mul_hi_u32 v13, v5, v4
	s_wait_alu 0xfffe
	v_mad_co_u64_u32 v[7:8], null, v5, s2, 0
	v_mad_co_u64_u32 v[9:10], null, v6, v4, 0
	;; [unrolled: 1-line block ×3, first 2 shown]
	s_delay_alu instid0(VALU_DEP_3) | instskip(SKIP_1) | instid1(VALU_DEP_4)
	v_add_co_u32 v4, vcc_lo, v13, v7
	s_wait_alu 0xfffd
	v_add_co_ci_u32_e32 v7, vcc_lo, 0, v8, vcc_lo
	s_delay_alu instid0(VALU_DEP_2) | instskip(SKIP_1) | instid1(VALU_DEP_2)
	v_add_co_u32 v4, vcc_lo, v4, v9
	s_wait_alu 0xfffd
	v_add_co_ci_u32_e32 v4, vcc_lo, v7, v10, vcc_lo
	s_wait_alu 0xfffd
	v_add_co_ci_u32_e32 v7, vcc_lo, 0, v12, vcc_lo
	s_delay_alu instid0(VALU_DEP_2) | instskip(SKIP_1) | instid1(VALU_DEP_2)
	v_add_co_u32 v4, vcc_lo, v4, v11
	s_wait_alu 0xfffd
	v_add_co_ci_u32_e32 v9, vcc_lo, 0, v7, vcc_lo
	s_delay_alu instid0(VALU_DEP_2) | instskip(SKIP_1) | instid1(VALU_DEP_3)
	v_mul_lo_u32 v10, s21, v4
	v_mad_co_u64_u32 v[7:8], null, s20, v4, 0
	v_mul_lo_u32 v11, s20, v9
	s_delay_alu instid0(VALU_DEP_2) | instskip(NEXT) | instid1(VALU_DEP_2)
	v_sub_co_u32 v7, vcc_lo, v5, v7
	v_add3_u32 v8, v8, v11, v10
	s_delay_alu instid0(VALU_DEP_1) | instskip(SKIP_1) | instid1(VALU_DEP_1)
	v_sub_nc_u32_e32 v10, v6, v8
	s_wait_alu 0xfffd
	v_subrev_co_ci_u32_e64 v10, s2, s21, v10, vcc_lo
	v_add_co_u32 v11, s2, v4, 2
	s_wait_alu 0xf1ff
	v_add_co_ci_u32_e64 v12, s2, 0, v9, s2
	v_sub_co_u32 v13, s2, v7, s20
	v_sub_co_ci_u32_e32 v8, vcc_lo, v6, v8, vcc_lo
	s_wait_alu 0xf1ff
	v_subrev_co_ci_u32_e64 v10, s2, 0, v10, s2
	s_delay_alu instid0(VALU_DEP_3) | instskip(NEXT) | instid1(VALU_DEP_3)
	v_cmp_le_u32_e32 vcc_lo, s20, v13
	v_cmp_eq_u32_e64 s2, s21, v8
	s_wait_alu 0xfffd
	v_cndmask_b32_e64 v13, 0, -1, vcc_lo
	v_cmp_le_u32_e32 vcc_lo, s21, v10
	s_wait_alu 0xfffd
	v_cndmask_b32_e64 v14, 0, -1, vcc_lo
	v_cmp_le_u32_e32 vcc_lo, s20, v7
	;; [unrolled: 3-line block ×3, first 2 shown]
	s_wait_alu 0xfffd
	v_cndmask_b32_e64 v15, 0, -1, vcc_lo
	v_cmp_eq_u32_e32 vcc_lo, s21, v10
	s_wait_alu 0xf1ff
	s_delay_alu instid0(VALU_DEP_2)
	v_cndmask_b32_e64 v7, v15, v7, s2
	s_wait_alu 0xfffd
	v_cndmask_b32_e32 v10, v14, v13, vcc_lo
	v_add_co_u32 v13, vcc_lo, v4, 1
	s_wait_alu 0xfffd
	v_add_co_ci_u32_e32 v14, vcc_lo, 0, v9, vcc_lo
	s_delay_alu instid0(VALU_DEP_3) | instskip(SKIP_2) | instid1(VALU_DEP_3)
	v_cmp_ne_u32_e32 vcc_lo, 0, v10
	s_wait_alu 0xfffd
	v_cndmask_b32_e32 v10, v13, v11, vcc_lo
	v_cndmask_b32_e32 v8, v14, v12, vcc_lo
	v_cmp_ne_u32_e32 vcc_lo, 0, v7
	s_wait_alu 0xfffd
	s_delay_alu instid0(VALU_DEP_2)
	v_dual_cndmask_b32 v7, v4, v10 :: v_dual_cndmask_b32 v8, v9, v8
.LBB0_4:                                ;   in Loop: Header=BB0_2 Depth=1
	s_wait_alu 0xfffe
	s_and_not1_saveexec_b32 s2, s22
	s_cbranch_execz .LBB0_6
; %bb.5:                                ;   in Loop: Header=BB0_2 Depth=1
	v_cvt_f32_u32_e32 v4, s20
	s_sub_co_i32 s22, 0, s20
	s_delay_alu instid0(VALU_DEP_1) | instskip(NEXT) | instid1(TRANS32_DEP_1)
	v_rcp_iflag_f32_e32 v4, v4
	v_mul_f32_e32 v4, 0x4f7ffffe, v4
	s_delay_alu instid0(VALU_DEP_1) | instskip(SKIP_1) | instid1(VALU_DEP_1)
	v_cvt_u32_f32_e32 v4, v4
	s_wait_alu 0xfffe
	v_mul_lo_u32 v7, s22, v4
	s_delay_alu instid0(VALU_DEP_1) | instskip(NEXT) | instid1(VALU_DEP_1)
	v_mul_hi_u32 v7, v4, v7
	v_add_nc_u32_e32 v4, v4, v7
	s_delay_alu instid0(VALU_DEP_1) | instskip(NEXT) | instid1(VALU_DEP_1)
	v_mul_hi_u32 v4, v5, v4
	v_mul_lo_u32 v7, v4, s20
	v_add_nc_u32_e32 v8, 1, v4
	s_delay_alu instid0(VALU_DEP_2) | instskip(NEXT) | instid1(VALU_DEP_1)
	v_sub_nc_u32_e32 v7, v5, v7
	v_subrev_nc_u32_e32 v9, s20, v7
	v_cmp_le_u32_e32 vcc_lo, s20, v7
	s_wait_alu 0xfffd
	s_delay_alu instid0(VALU_DEP_2) | instskip(NEXT) | instid1(VALU_DEP_1)
	v_dual_cndmask_b32 v7, v7, v9 :: v_dual_cndmask_b32 v4, v4, v8
	v_cmp_le_u32_e32 vcc_lo, s20, v7
	s_delay_alu instid0(VALU_DEP_2) | instskip(SKIP_1) | instid1(VALU_DEP_1)
	v_add_nc_u32_e32 v8, 1, v4
	s_wait_alu 0xfffd
	v_dual_cndmask_b32 v7, v4, v8 :: v_dual_mov_b32 v8, v3
.LBB0_6:                                ;   in Loop: Header=BB0_2 Depth=1
	s_wait_alu 0xfffe
	s_or_b32 exec_lo, exec_lo, s2
	s_load_b64 s[22:23], s[14:15], 0x0
	s_delay_alu instid0(VALU_DEP_1)
	v_mul_lo_u32 v4, v8, s20
	v_mul_lo_u32 v11, v7, s21
	v_mad_co_u64_u32 v[9:10], null, v7, s20, 0
	s_add_nc_u64 s[16:17], s[16:17], 1
	s_add_nc_u64 s[14:15], s[14:15], 8
	s_wait_alu 0xfffe
	v_cmp_ge_u64_e64 s2, s[16:17], s[6:7]
	s_add_nc_u64 s[18:19], s[18:19], 8
	s_delay_alu instid0(VALU_DEP_2) | instskip(NEXT) | instid1(VALU_DEP_3)
	v_add3_u32 v4, v10, v11, v4
	v_sub_co_u32 v5, vcc_lo, v5, v9
	s_wait_alu 0xfffd
	s_delay_alu instid0(VALU_DEP_2) | instskip(SKIP_3) | instid1(VALU_DEP_2)
	v_sub_co_ci_u32_e32 v4, vcc_lo, v6, v4, vcc_lo
	s_and_b32 vcc_lo, exec_lo, s2
	s_wait_kmcnt 0x0
	v_mul_lo_u32 v6, s23, v5
	v_mul_lo_u32 v4, s22, v4
	v_mad_co_u64_u32 v[1:2], null, s22, v5, v[1:2]
	s_delay_alu instid0(VALU_DEP_1)
	v_add3_u32 v2, v6, v2, v4
	s_wait_alu 0xfffe
	s_cbranch_vccnz .LBB0_9
; %bb.7:                                ;   in Loop: Header=BB0_2 Depth=1
	v_dual_mov_b32 v5, v7 :: v_dual_mov_b32 v6, v8
	s_branch .LBB0_2
.LBB0_8:
	v_dual_mov_b32 v8, v6 :: v_dual_mov_b32 v7, v5
.LBB0_9:
	s_lshl_b64 s[2:3], s[6:7], 3
	v_mul_hi_u32 v3, 0x1e573ad, v0
	s_wait_alu 0xfffe
	s_add_nc_u64 s[2:3], s[12:13], s[2:3]
	s_load_b64 s[0:1], s[0:1], 0x20
	s_load_b64 s[2:3], s[2:3], 0x0
                                        ; implicit-def: $vgpr85
                                        ; implicit-def: $vgpr84
                                        ; implicit-def: $vgpr89
                                        ; implicit-def: $vgpr86
                                        ; implicit-def: $vgpr87
                                        ; implicit-def: $vgpr88
                                        ; implicit-def: $vgpr90
                                        ; implicit-def: $vgpr91
                                        ; implicit-def: $vgpr92
	s_delay_alu instid0(VALU_DEP_1) | instskip(NEXT) | instid1(VALU_DEP_1)
	v_mul_u32_u24_e32 v3, 0x87, v3
	v_sub_nc_u32_e32 v78, v0, v3
	s_delay_alu instid0(VALU_DEP_1)
	v_add_nc_u32_e32 v77, 0x87, v78
	v_add_nc_u32_e32 v76, 0x10e, v78
	;; [unrolled: 1-line block ×4, first 2 shown]
	s_wait_kmcnt 0x0
	v_cmp_gt_u64_e32 vcc_lo, s[0:1], v[7:8]
	v_mul_lo_u32 v3, s2, v8
	v_mul_lo_u32 v4, s3, v7
	v_mad_co_u64_u32 v[0:1], null, s2, v7, v[1:2]
	v_cmp_le_u64_e64 s0, s[0:1], v[7:8]
	v_add_nc_u32_e32 v69, 0x21c, v78
	v_add_nc_u32_e32 v66, 0x2a3, v78
	;; [unrolled: 1-line block ×5, first 2 shown]
	v_add3_u32 v1, v4, v1, v3
	s_and_saveexec_b32 s1, s0
	s_wait_alu 0xfffe
	s_xor_b32 s0, exec_lo, s1
; %bb.10:
	v_add_nc_u32_e32 v85, 0x87, v78
	v_add_nc_u32_e32 v84, 0x10e, v78
	v_add_nc_u32_e32 v89, 0x32a, v78
	v_add_nc_u32_e32 v86, 0x195, v78
	v_add_nc_u32_e32 v87, 0x21c, v78
	v_add_nc_u32_e32 v88, 0x2a3, v78
	v_add_nc_u32_e32 v90, 0x3b1, v78
	v_add_nc_u32_e32 v91, 0x438, v78
	v_add_nc_u32_e32 v92, 0x4bf, v78
; %bb.11:
	s_wait_alu 0xfffe
	s_or_saveexec_b32 s1, s0
	v_lshlrev_b64_e32 v[20:21], 3, v[0:1]
	v_add_nc_u32_e32 v79, 0x654, v78
	v_add_nc_u32_e32 v68, 0x7e9, v78
	;; [unrolled: 1-line block ×12, first 2 shown]
                                        ; implicit-def: $vgpr17
                                        ; implicit-def: $vgpr23
                                        ; implicit-def: $vgpr29
                                        ; implicit-def: $vgpr25
                                        ; implicit-def: $vgpr37
                                        ; implicit-def: $vgpr27
                                        ; implicit-def: $vgpr41
                                        ; implicit-def: $vgpr19
                                        ; implicit-def: $vgpr11
                                        ; implicit-def: $vgpr7
                                        ; implicit-def: $vgpr31
                                        ; implicit-def: $vgpr33
                                        ; implicit-def: $vgpr39
                                        ; implicit-def: $vgpr35
                                        ; implicit-def: $vgpr15
                                        ; implicit-def: $vgpr13
                                        ; implicit-def: $vgpr45
                                        ; implicit-def: $vgpr9
                                        ; implicit-def: $vgpr5
                                        ; implicit-def: $vgpr3
                                        ; implicit-def: $vgpr55
                                        ; implicit-def: $vgpr61
                                        ; implicit-def: $vgpr49
                                        ; implicit-def: $vgpr57
                                        ; implicit-def: $vgpr51
                                        ; implicit-def: $vgpr59
                                        ; implicit-def: $vgpr47
                                        ; implicit-def: $vgpr53
                                        ; implicit-def: $vgpr43
                                        ; implicit-def: $vgpr1
	s_wait_alu 0xfffe
	s_xor_b32 exec_lo, exec_lo, s1
	s_cbranch_execz .LBB0_13
; %bb.12:
	v_mad_co_u64_u32 v[0:1], null, s8, v78, 0
	v_mad_co_u64_u32 v[2:3], null, s8, v72, 0
	;; [unrolled: 1-line block ×3, first 2 shown]
	v_add_co_u32 v16, s0, s10, v20
	s_wait_alu 0xf1ff
	v_add_co_ci_u32_e64 v17, s0, s11, v21, s0
	s_delay_alu instid0(VALU_DEP_4) | instskip(SKIP_4) | instid1(VALU_DEP_3)
	v_mad_co_u64_u32 v[4:5], null, s9, v78, v[1:2]
	v_mad_co_u64_u32 v[5:6], null, s8, v65, 0
	v_mov_b32_e32 v1, v3
	v_mad_co_u64_u32 v[12:13], null, s8, v68, 0
	v_mad_co_u64_u32 v[22:23], null, s8, v77, 0
	;; [unrolled: 1-line block ×3, first 2 shown]
	v_dual_mov_b32 v1, v4 :: v_dual_mov_b32 v4, v6
	v_mov_b32_e32 v6, v8
	v_mad_co_u64_u32 v[24:25], null, s8, v69, 0
	s_delay_alu instid0(VALU_DEP_3)
	v_lshlrev_b64_e32 v[0:1], 3, v[0:1]
	v_mov_b32_e32 v3, v9
	v_mad_co_u64_u32 v[8:9], null, s9, v65, v[4:5]
	v_mad_co_u64_u32 v[9:10], null, s9, v62, v[6:7]
	;; [unrolled: 1-line block ×3, first 2 shown]
	v_add_co_u32 v0, s0, v16, v0
	s_delay_alu instid0(VALU_DEP_4)
	v_mov_b32_e32 v6, v8
	v_lshlrev_b64_e32 v[2:3], 3, v[2:3]
	v_dual_mov_b32 v8, v9 :: v_dual_add_nc_u32 v9, 0x97e, v78
	s_wait_alu 0xf1ff
	v_add_co_ci_u32_e64 v1, s0, v17, v1, s0
	v_lshlrev_b64_e32 v[4:5], 3, v[5:6]
	s_delay_alu instid0(VALU_DEP_3)
	v_lshlrev_b64_e32 v[7:8], 3, v[7:8]
	v_mov_b32_e32 v6, v11
	v_add_co_u32 v2, s0, v16, v2
	s_wait_alu 0xf1ff
	v_add_co_ci_u32_e64 v3, s0, v17, v3, s0
	v_add_co_u32 v4, s0, v16, v4
	v_mad_co_u64_u32 v[14:15], null, s9, v79, v[6:7]
	v_mad_co_u64_u32 v[18:19], null, s8, v9, 0
	s_wait_alu 0xf1ff
	v_add_co_ci_u32_e64 v5, s0, v17, v5, s0
	v_mov_b32_e32 v6, v13
	v_add_co_u32 v7, s0, v16, v7
	v_mov_b32_e32 v11, v14
	s_wait_alu 0xf1ff
	v_add_co_ci_u32_e64 v8, s0, v17, v8, s0
	s_delay_alu instid0(VALU_DEP_3)
	v_mad_co_u64_u32 v[13:14], null, s9, v68, v[6:7]
	v_mov_b32_e32 v6, v19
	v_mad_co_u64_u32 v[14:15], null, s8, v80, 0
	s_clause 0x3
	global_load_b64 v[0:1], v[0:1], off
	global_load_b64 v[42:43], v[2:3], off
	;; [unrolled: 1-line block ×4, first 2 shown]
	v_lshlrev_b64_e32 v[2:3], 3, v[10:11]
	v_mad_co_u64_u32 v[4:5], null, s9, v9, v[6:7]
	v_lshlrev_b64_e32 v[6:7], 3, v[12:13]
	v_mad_co_u64_u32 v[8:9], null, s8, v70, 0
	v_mov_b32_e32 v5, v15
	v_add_co_u32 v2, s0, v16, v2
	v_mov_b32_e32 v19, v4
	s_wait_alu 0xf1ff
	v_add_co_ci_u32_e64 v3, s0, v17, v3, s0
	v_mad_co_u64_u32 v[4:5], null, s9, v80, v[5:6]
	v_add_co_u32 v5, s0, v16, v6
	s_wait_alu 0xf1ff
	v_add_co_ci_u32_e64 v6, s0, v17, v7, s0
	v_add_nc_u32_e32 v7, 0xe3d, v78
	v_lshlrev_b64_e32 v[10:11], 3, v[18:19]
	v_dual_mov_b32 v15, v4 :: v_dual_mov_b32 v4, v9
	v_mad_co_u64_u32 v[84:85], null, s8, v83, 0
	s_delay_alu instid0(VALU_DEP_4) | instskip(NEXT) | instid1(VALU_DEP_3)
	v_mad_co_u64_u32 v[12:13], null, s8, v7, 0
	v_mad_co_u64_u32 v[18:19], null, s9, v70, v[4:5]
	v_add_co_u32 v10, s0, v16, v10
	s_wait_alu 0xf1ff
	v_add_co_ci_u32_e64 v11, s0, v17, v11, s0
	s_delay_alu instid0(VALU_DEP_4) | instskip(SKIP_3) | instid1(VALU_DEP_4)
	v_mov_b32_e32 v4, v13
	v_lshlrev_b64_e32 v[14:15], 3, v[14:15]
	v_mov_b32_e32 v9, v18
	v_mad_co_u64_u32 v[34:35], null, s8, v71, 0
	v_mad_co_u64_u32 v[18:19], null, s9, v7, v[4:5]
	v_mov_b32_e32 v4, v23
	v_add_co_u32 v13, s0, v16, v14
	s_wait_alu 0xf1ff
	v_add_co_ci_u32_e64 v14, s0, v17, v15, s0
	s_clause 0x3
	global_load_b64 v[58:59], v[2:3], off
	global_load_b64 v[50:51], v[5:6], off
	;; [unrolled: 1-line block ×4, first 2 shown]
	v_mov_b32_e32 v13, v18
	v_mad_co_u64_u32 v[4:5], null, s9, v77, v[4:5]
	v_lshlrev_b64_e32 v[2:3], 3, v[8:9]
	v_mad_co_u64_u32 v[86:87], null, s8, v73, 0
	s_delay_alu instid0(VALU_DEP_4)
	v_lshlrev_b64_e32 v[6:7], 3, v[12:13]
	v_mad_co_u64_u32 v[11:12], null, s8, v81, 0
	v_mov_b32_e32 v5, v25
	v_add_co_u32 v2, s0, v16, v2
	s_wait_alu 0xf1ff
	v_add_co_ci_u32_e64 v3, s0, v17, v3, s0
	s_delay_alu instid0(VALU_DEP_3) | instskip(SKIP_3) | instid1(VALU_DEP_4)
	v_mad_co_u64_u32 v[8:9], null, s9, v69, v[5:6]
	v_mad_co_u64_u32 v[9:10], null, s8, v64, 0
	v_add_nc_u32_e32 v95, 0xdb6, v78
	v_add_nc_u32_e32 v38, 0x8f7, v78
	v_dual_mov_b32 v25, v8 :: v_dual_add_nc_u32 v96, 0xf4b, v78
	s_delay_alu instid0(VALU_DEP_4) | instskip(NEXT) | instid1(VALU_DEP_3)
	v_mov_b32_e32 v8, v10
	v_mad_co_u64_u32 v[36:37], null, s8, v38, 0
	s_delay_alu instid0(VALU_DEP_3) | instskip(SKIP_1) | instid1(VALU_DEP_4)
	v_lshlrev_b64_e32 v[13:14], 3, v[24:25]
	v_add_nc_u32_e32 v24, 0x870, v78
	v_mad_co_u64_u32 v[18:19], null, s9, v64, v[8:9]
	v_mov_b32_e32 v23, v4
	v_add_co_u32 v4, s0, v16, v6
	s_wait_alu 0xf1ff
	v_add_co_ci_u32_e64 v5, s0, v17, v7, s0
	v_mov_b32_e32 v8, v12
	v_mov_b32_e32 v10, v18
	v_lshlrev_b64_e32 v[6:7], 3, v[22:23]
	v_mad_co_u64_u32 v[18:19], null, s8, v74, 0
	v_mad_co_u64_u32 v[22:23], null, s8, v24, 0
	s_delay_alu instid0(VALU_DEP_3) | instskip(SKIP_1) | instid1(VALU_DEP_4)
	v_add_co_u32 v6, s0, v16, v6
	s_wait_alu 0xf1ff
	v_add_co_ci_u32_e64 v7, s0, v17, v7, s0
	v_add_co_u32 v12, s0, v16, v13
	s_wait_alu 0xf1ff
	v_add_co_ci_u32_e64 v13, s0, v17, v14, s0
	v_mad_co_u64_u32 v[14:15], null, s9, v81, v[8:9]
	s_clause 0x3
	global_load_b64 v[60:61], v[2:3], off
	global_load_b64 v[54:55], v[4:5], off
	;; [unrolled: 1-line block ×4, first 2 shown]
	v_lshlrev_b64_e32 v[6:7], 3, v[9:10]
	v_dual_mov_b32 v8, v19 :: v_dual_mov_b32 v9, v23
	v_dual_mov_b32 v12, v14 :: v_dual_add_nc_u32 v15, 0xa05, v78
	s_delay_alu instid0(VALU_DEP_3) | instskip(NEXT) | instid1(VALU_DEP_3)
	v_add_co_u32 v6, s0, v16, v6
	v_mad_co_u64_u32 v[13:14], null, s9, v74, v[8:9]
	v_mad_co_u64_u32 v[8:9], null, s9, v24, v[9:10]
	s_delay_alu instid0(VALU_DEP_4)
	v_mad_co_u64_u32 v[24:25], null, s8, v15, 0
	v_lshlrev_b64_e32 v[9:10], 3, v[11:12]
	s_wait_alu 0xf1ff
	v_add_co_ci_u32_e64 v7, s0, v17, v7, s0
	v_mov_b32_e32 v19, v13
	v_mov_b32_e32 v23, v8
	s_delay_alu instid0(VALU_DEP_4)
	v_add_co_u32 v11, s0, v16, v9
	v_mov_b32_e32 v8, v25
	s_wait_alu 0xf1ff
	v_add_co_ci_u32_e64 v12, s0, v17, v10, s0
	v_lshlrev_b64_e32 v[9:10], 3, v[18:19]
	v_lshlrev_b64_e32 v[13:14], 3, v[22:23]
	v_mad_co_u64_u32 v[22:23], null, s8, v75, 0
	s_delay_alu instid0(VALU_DEP_3) | instskip(SKIP_3) | instid1(VALU_DEP_4)
	v_mad_co_u64_u32 v[18:19], null, s9, v15, v[8:9]
	v_add_co_u32 v26, s0, v16, v9
	s_wait_alu 0xf1ff
	v_add_co_ci_u32_e64 v27, s0, v17, v10, s0
	v_mov_b32_e32 v8, v23
	v_add_co_u32 v28, s0, v16, v13
	v_mov_b32_e32 v25, v18
	s_wait_alu 0xf1ff
	v_add_co_ci_u32_e64 v29, s0, v17, v14, s0
	v_mad_co_u64_u32 v[30:31], null, s9, v75, v[8:9]
	s_clause 0x3
	global_load_b64 v[8:9], v[6:7], off
	global_load_b64 v[44:45], v[11:12], off
	;; [unrolled: 1-line block ×4, first 2 shown]
	v_mad_co_u64_u32 v[18:19], null, s8, v67, 0
	v_add_nc_u32_e32 v31, 0xec4, v78
	v_lshlrev_b64_e32 v[10:11], 3, v[24:25]
	v_mad_co_u64_u32 v[26:27], null, s8, v76, 0
	v_mad_co_u64_u32 v[28:29], null, s8, v66, 0
	v_mov_b32_e32 v6, v19
	v_mad_co_u64_u32 v[24:25], null, s8, v31, 0
	v_mov_b32_e32 v23, v30
	v_add_co_u32 v10, s0, v16, v10
	s_delay_alu instid0(VALU_DEP_4) | instskip(NEXT) | instid1(VALU_DEP_3)
	v_mad_co_u64_u32 v[6:7], null, s9, v67, v[6:7]
	v_lshlrev_b64_e32 v[22:23], 3, v[22:23]
	v_mov_b32_e32 v7, v25
	s_wait_alu 0xf1ff
	v_add_co_ci_u32_e64 v11, s0, v17, v11, s0
	s_delay_alu instid0(VALU_DEP_4) | instskip(NEXT) | instid1(VALU_DEP_4)
	v_mov_b32_e32 v19, v6
	v_add_co_u32 v22, s0, v16, v22
	s_wait_alu 0xf1ff
	v_add_co_ci_u32_e64 v23, s0, v17, v23, s0
	s_delay_alu instid0(VALU_DEP_3) | instskip(NEXT) | instid1(VALU_DEP_1)
	v_lshlrev_b64_e32 v[18:19], 3, v[18:19]
	v_add_co_u32 v18, s0, v16, v18
	s_wait_alu 0xf1ff
	s_delay_alu instid0(VALU_DEP_2) | instskip(SKIP_4) | instid1(VALU_DEP_3)
	v_add_co_ci_u32_e64 v19, s0, v17, v19, s0
	s_wait_loadcnt 0x3
	v_mad_co_u64_u32 v[6:7], null, s9, v31, v[7:8]
	v_mov_b32_e32 v7, v27
	v_mad_co_u64_u32 v[30:31], null, s8, v63, 0
	v_mov_b32_e32 v25, v6
	s_delay_alu instid0(VALU_DEP_3) | instskip(SKIP_1) | instid1(VALU_DEP_3)
	v_mad_co_u64_u32 v[6:7], null, s9, v76, v[7:8]
	v_mov_b32_e32 v7, v29
	v_lshlrev_b64_e32 v[24:25], 3, v[24:25]
	s_delay_alu instid0(VALU_DEP_2) | instskip(NEXT) | instid1(VALU_DEP_4)
	v_mad_co_u64_u32 v[32:33], null, s9, v66, v[7:8]
	v_mov_b32_e32 v27, v6
	s_delay_alu instid0(VALU_DEP_3) | instskip(SKIP_1) | instid1(VALU_DEP_4)
	v_add_co_u32 v6, s0, v16, v24
	s_wait_alu 0xf1ff
	v_add_co_ci_u32_e64 v7, s0, v17, v25, s0
	s_delay_alu instid0(VALU_DEP_3) | instskip(SKIP_2) | instid1(VALU_DEP_2)
	v_lshlrev_b64_e32 v[24:25], 3, v[26:27]
	v_dual_mov_b32 v26, v31 :: v_dual_mov_b32 v29, v32
	v_mad_co_u64_u32 v[32:33], null, s8, v82, 0
	v_mad_co_u64_u32 v[26:27], null, s9, v63, v[26:27]
	s_delay_alu instid0(VALU_DEP_3) | instskip(SKIP_1) | instid1(VALU_DEP_4)
	v_lshlrev_b64_e32 v[28:29], 3, v[28:29]
	v_add_co_u32 v24, s0, v16, v24
	v_mov_b32_e32 v27, v33
	s_wait_alu 0xf1ff
	v_add_co_ci_u32_e64 v25, s0, v17, v25, s0
	v_mov_b32_e32 v31, v26
	s_delay_alu instid0(VALU_DEP_3) | instskip(SKIP_2) | instid1(VALU_DEP_4)
	v_mad_co_u64_u32 v[26:27], null, s9, v82, v[27:28]
	v_mov_b32_e32 v27, v35
	v_add_co_u32 v28, s0, v16, v28
	v_lshlrev_b64_e32 v[30:31], 3, v[30:31]
	s_wait_alu 0xf1ff
	v_add_co_ci_u32_e64 v29, s0, v17, v29, s0
	v_mov_b32_e32 v33, v26
	v_mad_co_u64_u32 v[26:27], null, s9, v71, v[27:28]
	v_mov_b32_e32 v27, v37
	v_add_co_u32 v40, s0, v16, v30
	s_wait_alu 0xf1ff
	v_add_co_ci_u32_e64 v41, s0, v17, v31, s0
	v_lshlrev_b64_e32 v[30:31], 3, v[32:33]
	v_mad_co_u64_u32 v[32:33], null, s9, v38, v[27:28]
	v_mov_b32_e32 v35, v26
	s_delay_alu instid0(VALU_DEP_3) | instskip(SKIP_1) | instid1(VALU_DEP_4)
	v_add_co_u32 v26, s0, v16, v30
	s_wait_alu 0xf1ff
	v_add_co_ci_u32_e64 v27, s0, v17, v31, s0
	s_delay_alu instid0(VALU_DEP_3) | instskip(SKIP_1) | instid1(VALU_DEP_2)
	v_lshlrev_b64_e32 v[30:31], 3, v[34:35]
	v_dual_mov_b32 v37, v32 :: v_dual_mov_b32 v32, v85
	v_add_co_u32 v88, s0, v16, v30
	s_wait_alu 0xf1ff
	s_delay_alu instid0(VALU_DEP_3) | instskip(NEXT) | instid1(VALU_DEP_3)
	v_add_co_ci_u32_e64 v89, s0, v17, v31, s0
	v_lshlrev_b64_e32 v[30:31], 3, v[36:37]
	v_mad_co_u64_u32 v[32:33], null, s9, v83, v[32:33]
	v_mov_b32_e32 v33, v87
	v_mad_co_u64_u32 v[36:37], null, s8, v95, 0
	s_delay_alu instid0(VALU_DEP_4)
	v_add_co_u32 v90, s0, v16, v30
	s_wait_alu 0xf1ff
	v_add_co_ci_u32_e64 v91, s0, v17, v31, s0
	v_mov_b32_e32 v85, v32
	v_mad_co_u64_u32 v[92:93], null, s9, v73, v[33:34]
	s_clause 0x3
	global_load_b64 v[34:35], v[10:11], off
	global_load_b64 v[38:39], v[22:23], off
	;; [unrolled: 1-line block ×4, first 2 shown]
	v_mad_co_u64_u32 v[93:94], null, s8, v96, 0
	s_clause 0x3
	global_load_b64 v[6:7], v[24:25], off
	global_load_b64 v[10:11], v[28:29], off
	global_load_b64 v[18:19], v[40:41], off
	global_load_b64 v[40:41], v[26:27], off
	v_lshlrev_b64_e32 v[24:25], 3, v[84:85]
	v_dual_mov_b32 v87, v92 :: v_dual_mov_b32 v92, v62
	s_wait_loadcnt 0x6
	v_mad_co_u64_u32 v[22:23], null, s9, v95, v[37:38]
	v_mov_b32_e32 v23, v94
	s_delay_alu instid0(VALU_DEP_1) | instskip(NEXT) | instid1(VALU_DEP_3)
	v_mad_co_u64_u32 v[26:27], null, s9, v96, v[23:24]
	v_mov_b32_e32 v37, v22
	v_lshlrev_b64_e32 v[27:28], 3, v[86:87]
	v_add_co_u32 v22, s0, v16, v24
	s_wait_alu 0xf1ff
	v_add_co_ci_u32_e64 v23, s0, v17, v25, s0
	v_mov_b32_e32 v94, v26
	v_lshlrev_b64_e32 v[24:25], 3, v[36:37]
	v_add_co_u32 v84, s0, v16, v27
	s_wait_alu 0xf1ff
	v_add_co_ci_u32_e64 v85, s0, v17, v28, s0
	v_lshlrev_b64_e32 v[26:27], 3, v[93:94]
	s_delay_alu instid0(VALU_DEP_4) | instskip(SKIP_2) | instid1(VALU_DEP_3)
	v_add_co_u32 v86, s0, v16, v24
	s_wait_alu 0xf1ff
	v_add_co_ci_u32_e64 v87, s0, v17, v25, s0
	v_add_co_u32 v16, s0, v16, v26
	s_wait_alu 0xf1ff
	v_add_co_ci_u32_e64 v17, s0, v17, v27, s0
	s_clause 0x5
	global_load_b64 v[26:27], v[88:89], off
	global_load_b64 v[36:37], v[90:91], off
	global_load_b64 v[24:25], v[22:23], off
	global_load_b64 v[28:29], v[84:85], off
	global_load_b64 v[22:23], v[86:87], off
	global_load_b64 v[16:17], v[16:17], off
	v_dual_mov_b32 v84, v76 :: v_dual_mov_b32 v91, v63
	v_mov_b32_e32 v90, v64
	v_dual_mov_b32 v88, v66 :: v_dual_mov_b32 v87, v69
	v_dual_mov_b32 v86, v72 :: v_dual_mov_b32 v89, v65
	v_mov_b32_e32 v85, v77
.LBB0_13:
	s_or_b32 exec_lo, exec_lo, s1
	v_dual_add_f32 v93, v56, v58 :: v_dual_sub_f32 v96, v59, v57
	v_dual_add_f32 v94, v52, v0 :: v_dual_sub_f32 v95, v53, v61
	v_dual_sub_f32 v97, v52, v58 :: v_dual_sub_f32 v100, v58, v52
	s_delay_alu instid0(VALU_DEP_3) | instskip(SKIP_1) | instid1(VALU_DEP_4)
	v_fma_f32 v93, -0.5, v93, v0
	v_sub_f32_e32 v98, v60, v56
	v_dual_add_f32 v99, v60, v52 :: v_dual_add_f32 v94, v58, v94
	s_wait_loadcnt 0x1
	s_delay_alu instid0(VALU_DEP_3) | instskip(NEXT) | instid1(VALU_DEP_2)
	v_dual_sub_f32 v104, v24, v22 :: v_dual_fmamk_f32 v101, v95, 0x3f737871, v93
	v_dual_add_f32 v97, v98, v97 :: v_dual_fmac_f32 v0, -0.5, v99
	s_delay_alu instid0(VALU_DEP_3) | instskip(NEXT) | instid1(VALU_DEP_3)
	v_dual_add_f32 v94, v56, v94 :: v_dual_fmac_f32 v93, 0xbf737871, v95
	v_dual_fmac_f32 v101, 0x3f167918, v96 :: v_dual_add_f32 v102, v53, v1
	s_delay_alu instid0(VALU_DEP_3) | instskip(NEXT) | instid1(VALU_DEP_3)
	v_fmamk_f32 v99, v96, 0xbf737871, v0
	v_add_f32_e32 v94, v60, v94
	s_delay_alu instid0(VALU_DEP_3) | instskip(SKIP_3) | instid1(VALU_DEP_4)
	v_dual_sub_f32 v98, v56, v60 :: v_dual_fmac_f32 v101, 0x3e9e377a, v97
	v_add_f32_e32 v103, v57, v59
	v_fmac_f32_e32 v93, 0xbf167918, v96
	v_dual_fmac_f32 v99, 0x3f167918, v95 :: v_dual_sub_f32 v60, v52, v60
	v_add_f32_e32 v98, v98, v100
	s_delay_alu instid0(VALU_DEP_4)
	v_fma_f32 v107, -0.5, v103, v1
	v_sub_f32_e32 v100, v61, v57
	v_fmac_f32_e32 v0, 0x3f737871, v96
	v_dual_add_f32 v96, v59, v102 :: v_dual_fmac_f32 v93, 0x3e9e377a, v97
	v_fmac_f32_e32 v99, 0x3e9e377a, v98
	v_dual_fmamk_f32 v52, v60, 0xbf737871, v107 :: v_dual_sub_f32 v97, v58, v56
	s_delay_alu instid0(VALU_DEP_3) | instskip(SKIP_2) | instid1(VALU_DEP_4)
	v_dual_fmac_f32 v0, 0xbf167918, v95 :: v_dual_add_f32 v95, v57, v96
	v_add_f32_e32 v96, v61, v53
	v_sub_f32_e32 v58, v53, v59
	v_fmac_f32_e32 v52, 0xbf167918, v97
	s_delay_alu instid0(VALU_DEP_4) | instskip(NEXT) | instid1(VALU_DEP_4)
	v_dual_fmac_f32 v0, 0x3e9e377a, v98 :: v_dual_sub_f32 v53, v59, v53
	v_dual_fmac_f32 v1, -0.5, v96 :: v_dual_add_f32 v56, v61, v95
	v_fmac_f32_e32 v107, 0x3f737871, v60
	v_add_f32_e32 v95, v100, v58
	v_add_f32_e32 v59, v48, v50
	v_sub_f32_e32 v57, v57, v61
	v_fmamk_f32 v58, v97, 0x3f737871, v1
	v_dual_fmac_f32 v107, 0x3f167918, v97 :: v_dual_sub_f32 v96, v46, v50
	s_delay_alu instid0(VALU_DEP_3) | instskip(SKIP_1) | instid1(VALU_DEP_4)
	v_dual_fmac_f32 v52, 0x3e9e377a, v95 :: v_dual_add_f32 v53, v57, v53
	v_dual_add_f32 v98, v54, v46 :: v_dual_fmac_f32 v1, 0xbf737871, v97
	v_dual_add_f32 v57, v46, v42 :: v_dual_fmac_f32 v58, 0xbf167918, v60
	v_sub_f32_e32 v61, v47, v55
	v_fma_f32 v59, -0.5, v59, v42
	v_fmac_f32_e32 v107, 0x3e9e377a, v95
	v_dual_sub_f32 v95, v51, v49 :: v_dual_fmac_f32 v42, -0.5, v98
	v_sub_f32_e32 v97, v54, v48
	v_add_f32_e32 v57, v50, v57
	v_sub_f32_e32 v98, v50, v46
	v_sub_f32_e32 v100, v48, v54
	v_fmac_f32_e32 v58, 0x3e9e377a, v53
	v_add_f32_e32 v96, v97, v96
	v_fmac_f32_e32 v1, 0x3f167918, v60
	v_fmamk_f32 v60, v61, 0x3f737871, v59
	v_dual_fmac_f32 v59, 0xbf737871, v61 :: v_dual_sub_f32 v46, v46, v54
	v_cmp_gt_u32_e64 s0, 15, v78
	v_add_f32_e32 v120, v45, v5
	s_delay_alu instid0(VALU_DEP_4) | instskip(NEXT) | instid1(VALU_DEP_4)
	v_dual_fmac_f32 v60, 0x3f167918, v95 :: v_dual_add_f32 v57, v48, v57
	v_fmac_f32_e32 v59, 0xbf167918, v95
	v_dual_fmac_f32 v1, 0x3e9e377a, v53 :: v_dual_sub_f32 v48, v50, v48
	s_delay_alu instid0(VALU_DEP_3) | instskip(NEXT) | instid1(VALU_DEP_3)
	v_dual_fmac_f32 v60, 0x3e9e377a, v96 :: v_dual_add_f32 v57, v54, v57
	v_dual_fmac_f32 v59, 0x3e9e377a, v96 :: v_dual_add_f32 v54, v100, v98
	v_fmamk_f32 v96, v95, 0xbf737871, v42
	v_fmac_f32_e32 v42, 0x3f737871, v95
	v_add_f32_e32 v97, v49, v51
	v_add_f32_e32 v53, v47, v43
	v_sub_f32_e32 v50, v47, v51
	v_fmac_f32_e32 v96, 0x3f167918, v61
	v_fmac_f32_e32 v42, 0xbf167918, v61
	v_fma_f32 v95, -0.5, v97, v43
	v_add_f32_e32 v53, v51, v53
	s_delay_alu instid0(VALU_DEP_4) | instskip(NEXT) | instid1(VALU_DEP_4)
	v_dual_add_f32 v97, v55, v47 :: v_dual_fmac_f32 v96, 0x3e9e377a, v54
	v_fmac_f32_e32 v42, 0x3e9e377a, v54
	s_delay_alu instid0(VALU_DEP_4) | instskip(NEXT) | instid1(VALU_DEP_4)
	v_fmamk_f32 v61, v46, 0xbf737871, v95
	v_add_f32_e32 v53, v49, v53
	v_sub_f32_e32 v54, v55, v49
	v_dual_fmac_f32 v43, -0.5, v97 :: v_dual_mul_f32 v98, 0x3f4f1bbd, v60
	s_delay_alu instid0(VALU_DEP_4) | instskip(NEXT) | instid1(VALU_DEP_3)
	v_fmac_f32_e32 v61, 0xbf167918, v48
	v_dual_add_f32 v53, v55, v53 :: v_dual_add_f32 v50, v54, v50
	s_delay_alu instid0(VALU_DEP_3) | instskip(SKIP_2) | instid1(VALU_DEP_4)
	v_fmamk_f32 v97, v48, 0x3f737871, v43
	v_dual_sub_f32 v47, v51, v47 :: v_dual_mul_f32 v100, 0x3e9e377a, v96
	v_mul_f32_e32 v54, 0xbf167918, v60
	v_fmac_f32_e32 v61, 0x3e9e377a, v50
	v_sub_f32_e32 v49, v49, v55
	v_fmac_f32_e32 v97, 0xbf167918, v46
	v_dual_fmac_f32 v43, 0xbf737871, v48 :: v_dual_add_f32 v60, v8, v2
	s_delay_alu instid0(VALU_DEP_3) | instskip(SKIP_3) | instid1(VALU_DEP_4)
	v_dual_fmac_f32 v98, 0x3f167918, v61 :: v_dual_add_f32 v47, v49, v47
	v_mul_f32_e32 v55, 0xbf737871, v96
	v_dual_sub_f32 v96, v8, v12 :: v_dual_add_f32 v139, v41, v11
	v_add_f32_e32 v121, v53, v56
	v_fmac_f32_e32 v97, 0x3e9e377a, v47
	v_fmac_f32_e32 v95, 0x3f737871, v46
	v_sub_f32_e32 v133, v56, v53
	s_delay_alu instid0(VALU_DEP_3) | instskip(NEXT) | instid1(VALU_DEP_3)
	v_fmac_f32_e32 v100, 0x3f737871, v97
	v_fmac_f32_e32 v95, 0x3f167918, v48
	v_mul_f32_e32 v48, 0x3f4f1bbd, v59
	s_delay_alu instid0(VALU_DEP_2) | instskip(NEXT) | instid1(VALU_DEP_1)
	v_fmac_f32_e32 v95, 0x3e9e377a, v50
	v_fma_f32 v103, 0x3f167918, v95, -v48
	v_dual_add_f32 v48, v99, v100 :: v_dual_mul_f32 v51, 0x3f4f1bbd, v95
	v_sub_f32_e32 v95, v13, v35
	s_delay_alu instid0(VALU_DEP_3) | instskip(SKIP_1) | instid1(VALU_DEP_4)
	v_dual_add_f32 v50, v93, v103 :: v_dual_fmac_f32 v43, 0x3f167918, v46
	v_add_f32_e32 v46, v57, v94
	v_fma_f32 v109, 0xbf167918, v59, -v51
	v_dual_sub_f32 v51, v94, v57 :: v_dual_add_f32 v94, v32, v8
	s_delay_alu instid0(VALU_DEP_4) | instskip(SKIP_1) | instid1(VALU_DEP_1)
	v_fmac_f32_e32 v43, 0x3e9e377a, v47
	v_mul_f32_e32 v47, 0x3e9e377a, v42
	v_fma_f32 v102, 0x3f737871, v43, -v47
	v_mul_f32_e32 v43, 0x3e9e377a, v43
	v_add_f32_e32 v47, v101, v98
	s_delay_alu instid0(VALU_DEP_3) | instskip(NEXT) | instid1(VALU_DEP_3)
	v_add_f32_e32 v49, v0, v102
	v_fma_f32 v108, 0xbf737871, v42, -v43
	v_add_f32_e32 v43, v12, v60
	v_sub_f32_e32 v42, v0, v102
	v_sub_f32_e32 v60, v99, v100
	v_add_f32_e32 v100, v44, v4
	s_delay_alu instid0(VALU_DEP_4) | instskip(SKIP_3) | instid1(VALU_DEP_4)
	v_dual_add_f32 v127, v1, v108 :: v_dual_add_f32 v0, v34, v43
	v_dual_fmac_f32 v54, 0x3f4f1bbd, v61 :: v_dual_add_f32 v61, v34, v12
	v_sub_f32_e32 v43, v93, v103
	v_add_f32_e32 v103, v18, v6
	v_add_f32_e32 v99, v32, v0
	v_sub_f32_e32 v0, v12, v8
	v_fma_f32 v57, -0.5, v61, v2
	v_fmac_f32_e32 v2, -0.5, v94
	v_sub_f32_e32 v59, v101, v98
	v_sub_f32_e32 v98, v32, v34
	v_dual_sub_f32 v94, v34, v32 :: v_dual_sub_f32 v61, v9, v33
	v_dual_fmac_f32 v55, 0x3e9e377a, v97 :: v_dual_sub_f32 v12, v12, v34
	v_sub_f32_e32 v1, v1, v108
	s_delay_alu instid0(VALU_DEP_3) | instskip(SKIP_2) | instid1(VALU_DEP_2)
	v_add_f32_e32 v94, v94, v0
	v_dual_add_f32 v93, v98, v96 :: v_dual_fmamk_f32 v98, v95, 0xbf737871, v2
	v_add_f32_e32 v96, v38, v14
	v_dual_sub_f32 v125, v58, v55 :: v_dual_fmac_f32 v98, 0x3f167918, v61
	s_delay_alu instid0(VALU_DEP_2)
	v_fma_f32 v0, -0.5, v96, v4
	v_sub_f32_e32 v96, v45, v31
	v_fmamk_f32 v97, v61, 0x3f737871, v57
	v_fmac_f32_e32 v57, 0xbf737871, v61
	v_fmac_f32_e32 v98, 0x3e9e377a, v94
	;; [unrolled: 1-line block ×3, first 2 shown]
	v_fmamk_f32 v110, v96, 0x3f737871, v0
	v_fmac_f32_e32 v0, 0xbf737871, v96
	v_fmac_f32_e32 v57, 0xbf167918, v95
	v_sub_f32_e32 v101, v30, v38
	v_fmac_f32_e32 v97, 0x3f167918, v95
	v_dual_sub_f32 v95, v15, v39 :: v_dual_fmac_f32 v2, 0xbf167918, v61
	s_delay_alu instid0(VALU_DEP_1) | instskip(SKIP_1) | instid1(VALU_DEP_3)
	v_dual_fmac_f32 v97, 0x3e9e377a, v93 :: v_dual_fmac_f32 v2, 0x3e9e377a, v94
	v_sub_f32_e32 v94, v14, v44
	v_fmac_f32_e32 v110, 0x3f167918, v95
	v_fmac_f32_e32 v57, 0x3e9e377a, v93
	v_dual_add_f32 v93, v14, v100 :: v_dual_fmac_f32 v0, 0xbf167918, v95
	v_sub_f32_e32 v100, v44, v14
	s_delay_alu instid0(VALU_DEP_1) | instskip(SKIP_3) | instid1(VALU_DEP_4)
	v_dual_add_f32 v100, v101, v100 :: v_dual_add_f32 v61, v38, v93
	v_add_f32_e32 v93, v30, v44
	v_sub_f32_e32 v101, v38, v30
	v_sub_f32_e32 v38, v14, v38
	v_dual_fmac_f32 v0, 0x3e9e377a, v100 :: v_dual_add_f32 v61, v30, v61
	v_sub_f32_e32 v30, v44, v30
	v_dual_fmac_f32 v4, -0.5, v93 :: v_dual_add_f32 v93, v39, v15
	v_fmac_f32_e32 v110, 0x3e9e377a, v100
	s_delay_alu instid0(VALU_DEP_2) | instskip(NEXT) | instid1(VALU_DEP_3)
	v_fmamk_f32 v111, v95, 0xbf737871, v4
	v_fma_f32 v112, -0.5, v93, v5
	v_fmac_f32_e32 v4, 0x3f737871, v95
	v_dual_add_f32 v44, v101, v94 :: v_dual_add_f32 v93, v31, v45
	s_delay_alu instid0(VALU_DEP_4) | instskip(NEXT) | instid1(VALU_DEP_4)
	v_fmac_f32_e32 v111, 0x3f167918, v96
	v_fmamk_f32 v114, v30, 0xbf737871, v112
	s_delay_alu instid0(VALU_DEP_4) | instskip(NEXT) | instid1(VALU_DEP_4)
	v_fmac_f32_e32 v4, 0xbf167918, v96
	v_dual_sub_f32 v94, v31, v39 :: v_dual_fmac_f32 v5, -0.5, v93
	s_delay_alu instid0(VALU_DEP_4) | instskip(NEXT) | instid1(VALU_DEP_4)
	v_fmac_f32_e32 v111, 0x3e9e377a, v44
	v_dual_fmac_f32 v114, 0xbf167918, v38 :: v_dual_sub_f32 v93, v45, v15
	v_dual_sub_f32 v45, v15, v45 :: v_dual_fmac_f32 v112, 0x3f737871, v30
	s_delay_alu instid0(VALU_DEP_4) | instskip(SKIP_1) | instid1(VALU_DEP_4)
	v_dual_fmamk_f32 v14, v38, 0x3f737871, v5 :: v_dual_sub_f32 v95, v39, v31
	v_fmac_f32_e32 v5, 0xbf737871, v38
	v_dual_add_f32 v93, v94, v93 :: v_dual_fmac_f32 v4, 0x3e9e377a, v44
	s_delay_alu instid0(VALU_DEP_3) | instskip(SKIP_1) | instid1(VALU_DEP_4)
	v_dual_fmac_f32 v14, 0xbf167918, v30 :: v_dual_add_f32 v45, v95, v45
	v_fmac_f32_e32 v112, 0x3f167918, v38
	v_fmac_f32_e32 v5, 0x3f167918, v30
	s_delay_alu instid0(VALU_DEP_4) | instskip(SKIP_2) | instid1(VALU_DEP_4)
	v_fmac_f32_e32 v114, 0x3e9e377a, v93
	v_mul_f32_e32 v30, 0x3f4f1bbd, v110
	v_fmac_f32_e32 v14, 0x3e9e377a, v45
	v_dual_mul_f32 v38, 0x3e9e377a, v111 :: v_dual_fmac_f32 v5, 0x3e9e377a, v45
	v_mul_f32_e32 v45, 0x3f4f1bbd, v0
	s_delay_alu instid0(VALU_DEP_4) | instskip(SKIP_1) | instid1(VALU_DEP_4)
	v_fmac_f32_e32 v30, 0x3f167918, v114
	v_fmac_f32_e32 v112, 0x3e9e377a, v93
	;; [unrolled: 1-line block ×3, first 2 shown]
	v_sub_f32_e32 v96, v99, v61
	v_add_f32_e32 v122, v52, v54
	s_delay_alu instid0(VALU_DEP_4) | instskip(NEXT) | instid1(VALU_DEP_1)
	v_fma_f32 v101, 0x3f167918, v112, -v45
	v_dual_mul_f32 v44, 0x3e9e377a, v4 :: v_dual_add_f32 v95, v57, v101
	s_delay_alu instid0(VALU_DEP_1) | instskip(SKIP_1) | instid1(VALU_DEP_2)
	v_fma_f32 v100, 0x3f737871, v5, -v44
	v_dual_add_f32 v44, v61, v99 :: v_dual_mul_f32 v5, 0x3e9e377a, v5
	v_sub_f32_e32 v99, v2, v100
	v_add_f32_e32 v45, v97, v30
	v_sub_f32_e32 v97, v97, v30
	v_mul_u32_u24_e32 v30, 10, v78
	v_add_f32_e32 v94, v2, v100
	v_dual_sub_f32 v100, v57, v101 :: v_dual_sub_f32 v57, v22, v24
	v_add_f32_e32 v93, v98, v38
	v_sub_f32_e32 v98, v98, v38
	v_lshl_add_u32 v129, v30, 2, 0
	v_sub_f32_e32 v30, v27, v25
	v_add_f32_e32 v102, v24, v26
	v_sub_f32_e32 v38, v18, v26
	v_add_f32_e32 v101, v22, v18
	ds_store_2addr_b64 v129, v[46:47], v[48:49] offset1:1
	ds_store_2addr_b64 v129, v[50:51], v[59:60] offset0:2 offset1:3
	s_wait_loadcnt 0x0
	v_sub_f32_e32 v47, v16, v28
	v_fma_f32 v61, -0.5, v102, v6
	v_sub_f32_e32 v102, v19, v23
	v_dual_add_f32 v38, v57, v38 :: v_dual_add_f32 v57, v28, v36
	v_dual_fmac_f32 v6, -0.5, v101 :: v_dual_sub_f32 v101, v26, v18
	s_delay_alu instid0(VALU_DEP_3) | instskip(SKIP_1) | instid1(VALU_DEP_4)
	v_fmamk_f32 v2, v102, 0x3f737871, v61
	v_fmac_f32_e32 v61, 0xbf737871, v102
	v_fma_f32 v134, -0.5, v57, v10
	v_sub_f32_e32 v57, v41, v17
	v_add_f32_e32 v49, v40, v10
	v_fmac_f32_e32 v2, 0x3f167918, v30
	v_fmac_f32_e32 v61, 0xbf167918, v30
	ds_store_b64 v129, v[42:43] offset:32
	v_dual_fmamk_f32 v135, v57, 0x3f737871, v134 :: v_dual_sub_f32 v46, v40, v36
	v_fmac_f32_e32 v134, 0xbf737871, v57
	v_sub_f32_e32 v18, v18, v22
	v_sub_f32_e32 v8, v8, v32
	v_fma_f32 v5, 0xbf737871, v4, -v5
	v_dual_add_f32 v46, v47, v46 :: v_dual_sub_f32 v47, v36, v40
	v_fmac_f32_e32 v61, 0x3e9e377a, v38
	v_fmamk_f32 v105, v30, 0xbf737871, v6
	v_fmac_f32_e32 v2, 0x3e9e377a, v38
	v_add_f32_e32 v38, v104, v101
	v_fmac_f32_e32 v6, 0x3f737871, v30
	s_delay_alu instid0(VALU_DEP_4) | instskip(SKIP_1) | instid1(VALU_DEP_3)
	v_dual_sub_f32 v30, v37, v29 :: v_dual_fmac_f32 v105, 0x3f167918, v102
	v_add_f32_e32 v48, v16, v40
	v_fmac_f32_e32 v6, 0xbf167918, v102
	s_delay_alu instid0(VALU_DEP_3) | instskip(NEXT) | instid1(VALU_DEP_3)
	v_fmac_f32_e32 v135, 0x3f167918, v30
	v_dual_fmac_f32 v105, 0x3e9e377a, v38 :: v_dual_fmac_f32 v10, -0.5, v48
	v_fmac_f32_e32 v134, 0xbf167918, v30
	s_delay_alu instid0(VALU_DEP_4) | instskip(NEXT) | instid1(VALU_DEP_4)
	v_fmac_f32_e32 v6, 0x3e9e377a, v38
	v_dual_fmac_f32 v135, 0x3e9e377a, v46 :: v_dual_sub_f32 v48, v28, v16
	s_delay_alu instid0(VALU_DEP_4) | instskip(SKIP_3) | instid1(VALU_DEP_4)
	v_fmamk_f32 v136, v30, 0xbf737871, v10
	v_fmac_f32_e32 v10, 0x3f737871, v30
	v_sub_f32_e32 v30, v40, v16
	v_add_f32_e32 v38, v29, v37
	v_fmac_f32_e32 v136, 0x3f167918, v57
	s_delay_alu instid0(VALU_DEP_4) | instskip(NEXT) | instid1(VALU_DEP_3)
	v_fmac_f32_e32 v10, 0xbf167918, v57
	v_fma_f32 v137, -0.5, v38, v11
	v_add_f32_e32 v38, v48, v47
	v_sub_f32_e32 v47, v36, v28
	v_add_f32_e32 v36, v36, v49
	s_delay_alu instid0(VALU_DEP_4) | instskip(NEXT) | instid1(VALU_DEP_4)
	v_fmamk_f32 v138, v30, 0xbf737871, v137
	v_fmac_f32_e32 v136, 0x3e9e377a, v38
	v_fmac_f32_e32 v10, 0x3e9e377a, v38
	v_add_f32_e32 v38, v17, v41
	v_dual_add_f32 v28, v28, v36 :: v_dual_fmac_f32 v137, 0x3f737871, v30
	s_delay_alu instid0(VALU_DEP_2) | instskip(NEXT) | instid1(VALU_DEP_2)
	v_dual_fmac_f32 v138, 0xbf167918, v47 :: v_dual_fmac_f32 v11, -0.5, v38
	v_add_f32_e32 v16, v16, v28
	s_delay_alu instid0(VALU_DEP_3) | instskip(NEXT) | instid1(VALU_DEP_3)
	v_dual_sub_f32 v40, v41, v37 :: v_dual_fmac_f32 v137, 0x3f167918, v47
	v_fmamk_f32 v140, v47, 0x3f737871, v11
	v_fmac_f32_e32 v11, 0xbf737871, v47
	s_delay_alu instid0(VALU_DEP_1) | instskip(SKIP_2) | instid1(VALU_DEP_1)
	v_fmac_f32_e32 v11, 0x3f167918, v30
	v_fmac_f32_e32 v134, 0x3e9e377a, v46
	v_sub_f32_e32 v46, v17, v29
	v_add_f32_e32 v40, v46, v40
	v_add_f32_e32 v46, v26, v103
	s_delay_alu instid0(VALU_DEP_2) | instskip(NEXT) | instid1(VALU_DEP_2)
	v_fmac_f32_e32 v138, 0x3e9e377a, v40
	v_dual_fmac_f32 v137, 0x3e9e377a, v40 :: v_dual_add_f32 v38, v24, v46
	v_sub_f32_e32 v40, v37, v41
	v_dual_sub_f32 v41, v29, v17 :: v_dual_sub_f32 v24, v26, v24
	v_sub_f32_e32 v32, v33, v35
	s_delay_alu instid0(VALU_DEP_4) | instskip(SKIP_1) | instid1(VALU_DEP_4)
	v_add_f32_e32 v38, v22, v38
	v_sub_f32_e32 v26, v19, v27
	v_add_f32_e32 v36, v41, v40
	v_mul_i32_i24_e32 v40, 10, v85
	s_delay_alu instid0(VALU_DEP_4) | instskip(NEXT) | instid1(VALU_DEP_3)
	v_dual_sub_f32 v22, v23, v25 :: v_dual_sub_f32 v49, v38, v16
	v_dual_sub_f32 v34, v9, v13 :: v_dual_fmac_f32 v11, 0x3e9e377a, v36
	v_mul_f32_e32 v43, 0x3f4f1bbd, v134
	v_fmac_f32_e32 v140, 0xbf167918, v30
	v_lshl_add_u32 v30, v40, 2, 0
	v_add_f32_e32 v40, v16, v38
	v_mad_i32_i24 v38, 0xffffffdc, v78, v129
	v_add_f32_e32 v4, v32, v34
	v_fma_f32 v50, 0x3f167918, v137, -v43
	v_add_f32_e32 v16, v35, v13
	s_delay_alu instid0(VALU_DEP_4)
	v_dual_add_f32 v32, v19, v7 :: v_dual_add_nc_u32 v119, 0x2c00, v38
	v_fmac_f32_e32 v140, 0x3e9e377a, v36
	v_mul_f32_e32 v36, 0x3e9e377a, v10
	v_add_f32_e32 v48, v61, v50
	v_sub_f32_e32 v51, v61, v50
	v_fma_f32 v16, -0.5, v16, v3
	v_add_nc_u32_e32 v116, 0x1a00, v38
	v_fma_f32 v36, 0x3f737871, v11, -v36
	v_mul_f32_e32 v11, 0x3e9e377a, v11
	v_add_nc_u32_e32 v118, 0x3400, v38
	v_add_nc_u32_e32 v130, 0x3800, v38
	;; [unrolled: 1-line block ×3, first 2 shown]
	v_add_f32_e32 v47, v6, v36
	v_sub_f32_e32 v50, v6, v36
	v_dual_add_f32 v6, v15, v120 :: v_dual_add_f32 v15, v9, v3
	v_add_nc_u32_e32 v115, 0xe00, v38
	v_add_nc_u32_e32 v117, 0x2800, v38
	;; [unrolled: 1-line block ×4, first 2 shown]
	v_add_f32_e32 v15, v13, v15
	v_sub_f32_e32 v13, v13, v9
	v_dual_add_f32 v9, v33, v9 :: v_dual_mul_f32 v42, 0x3f4f1bbd, v135
	s_delay_alu instid0(VALU_DEP_3) | instskip(SKIP_1) | instid1(VALU_DEP_3)
	v_add_f32_e32 v15, v35, v15
	v_sub_f32_e32 v35, v35, v33
	v_fmac_f32_e32 v3, -0.5, v9
	s_delay_alu instid0(VALU_DEP_3) | instskip(SKIP_1) | instid1(VALU_DEP_3)
	v_add_f32_e32 v15, v33, v15
	v_fmamk_f32 v33, v8, 0xbf737871, v16
	v_fmamk_f32 v9, v12, 0x3f737871, v3
	v_fmac_f32_e32 v3, 0xbf737871, v12
	v_fmac_f32_e32 v42, 0x3f167918, v138
	;; [unrolled: 1-line block ×3, first 2 shown]
	v_dual_sub_f32 v124, v52, v54 :: v_dual_fmac_f32 v33, 0xbf167918, v12
	s_delay_alu instid0(VALU_DEP_4) | instskip(NEXT) | instid1(VALU_DEP_4)
	v_fmac_f32_e32 v3, 0x3f167918, v8
	v_add_f32_e32 v41, v2, v42
	v_sub_f32_e32 v42, v2, v42
	v_fmac_f32_e32 v16, 0x3f167918, v12
	v_dual_add_f32 v12, v35, v13 :: v_dual_mul_f32 v13, 0xbf167918, v110
	v_mul_i32_i24_e32 v2, 10, v84
	v_dual_add_f32 v126, v58, v55 :: v_dual_fmac_f32 v9, 0xbf167918, v8
	v_fmac_f32_e32 v33, 0x3e9e377a, v4
	v_fmac_f32_e32 v16, 0x3e9e377a, v4
	v_mul_f32_e32 v8, 0xbf737871, v111
	v_dual_mul_f32 v4, 0x3f4f1bbd, v112 :: v_dual_fmac_f32 v13, 0x3f4f1bbd, v114
	v_add_f32_e32 v6, v39, v6
	v_mul_f32_e32 v28, 0x3e9e377a, v136
	v_lshl_add_u32 v36, v2, 2, 0
	v_dual_add_f32 v132, v107, v109 :: v_dual_fmac_f32 v3, 0x3e9e377a, v12
	v_dual_sub_f32 v2, v107, v109 :: v_dual_fmac_f32 v9, 0x3e9e377a, v12
	v_dual_add_f32 v6, v31, v6 :: v_dual_add_f32 v31, v37, v139
	v_fmac_f32_e32 v8, 0x3e9e377a, v14
	v_fma_f32 v0, 0xbf167918, v0, -v4
	v_add_nc_u32_e32 v128, 0x2200, v38
	v_add_nc_u32_e32 v104, 0x3000, v38
	v_add_f32_e32 v4, v3, v5
	v_sub_f32_e32 v5, v3, v5
	v_add_f32_e32 v3, v9, v8
	v_sub_f32_e32 v9, v9, v8
	v_sub_f32_e32 v8, v33, v13
	v_dual_add_f32 v13, v33, v13 :: v_dual_fmac_f32 v28, 0x3f737871, v140
	v_dual_add_f32 v12, v6, v15 :: v_dual_sub_f32 v15, v15, v6
	v_add_f32_e32 v14, v16, v0
	v_sub_f32_e32 v6, v16, v0
	v_add_f32_e32 v0, v29, v31
	v_dual_add_f32 v16, v27, v32 :: v_dual_add_f32 v29, v25, v27
	v_dual_add_f32 v46, v105, v28 :: v_dual_sub_f32 v27, v27, v19
	s_delay_alu instid0(VALU_DEP_2) | instskip(NEXT) | instid1(VALU_DEP_3)
	v_dual_add_f32 v19, v23, v19 :: v_dual_add_f32 v16, v25, v16
	v_fma_f32 v29, -0.5, v29, v7
	v_sub_f32_e32 v25, v25, v23
	v_sub_f32_e32 v43, v105, v28
	s_delay_alu instid0(VALU_DEP_4) | instskip(NEXT) | instid1(VALU_DEP_4)
	v_fmac_f32_e32 v7, -0.5, v19
	v_dual_add_f32 v23, v23, v16 :: v_dual_fmamk_f32 v16, v18, 0xbf737871, v29
	v_fmac_f32_e32 v29, 0x3f737871, v18
	v_add_f32_e32 v19, v22, v26
	ds_store_2addr_b64 v30, v[44:45], v[93:94] offset1:1
	ds_store_2addr_b64 v30, v[95:96], v[97:98] offset0:2 offset1:3
	ds_store_b64 v30, v[99:100] offset:32
	ds_store_2addr_b64 v36, v[40:41], v[46:47] offset1:1
	ds_store_2addr_b64 v36, v[48:49], v[42:43] offset0:2 offset1:3
	ds_store_b64 v36, v[50:51] offset:32
	v_lshl_add_u32 v95, v87, 2, 0
	v_fmac_f32_e32 v16, 0xbf167918, v24
	v_fmac_f32_e32 v29, 0x3f167918, v24
	v_mad_i32_i24 v97, 0xffffffdc, v84, v36
	v_mad_i32_i24 v98, 0xffffffdc, v85, v30
	v_lshl_add_u32 v96, v88, 2, 0
	v_fmac_f32_e32 v16, 0x3e9e377a, v19
	v_fmac_f32_e32 v29, 0x3e9e377a, v19
	v_and_b32_e32 v19, 0xffff, v85
	v_lshl_add_u32 v94, v86, 2, 0
	global_wb scope:SCOPE_SE
	s_wait_dscnt 0x0
	s_barrier_signal -1
	s_barrier_wait -1
	v_mul_u32_u24_e32 v19, 0xcccd, v19
	global_inv scope:SCOPE_SE
	ds_load_b32 v103, v38
	v_lshl_add_u32 v93, v89, 2, 0
	ds_load_b32 v28, v95
	ds_load_b32 v101, v97
	;; [unrolled: 1-line block ×6, first 2 shown]
	ds_load_b32 v105, v38 offset:15660
	ds_load_2addr_b32 v[44:45], v113 offset0:77 offset1:212
	ds_load_2addr_b32 v[42:43], v128 offset0:119 offset1:254
	ds_load_2addr_b32 v[40:41], v104 offset0:33 offset1:168
	ds_load_2addr_b32 v[60:61], v115 offset0:49 offset1:184
	ds_load_2addr_b32 v[58:59], v116 offset0:91 offset1:226
	ds_load_2addr_b32 v[56:57], v117 offset0:5 offset1:140
	ds_load_2addr_b32 v[54:55], v118 offset0:47 offset1:182
	ds_load_2addr_b32 v[52:53], v123 offset0:63 offset1:198
	ds_load_2addr_b32 v[50:51], v131 offset0:105 offset1:240
	ds_load_2addr_b32 v[48:49], v119 offset0:19 offset1:154
	ds_load_2addr_b32 v[46:47], v130 offset0:61 offset1:196
	v_fmamk_f32 v22, v24, 0x3f737871, v7
	v_fmac_f32_e32 v7, 0xbf737871, v24
	v_lshrrev_b32_e32 v33, 19, v19
	v_add_f32_e32 v24, v25, v27
	v_add_f32_e32 v0, v17, v0
	v_fmac_f32_e32 v22, 0xbf167918, v18
	v_fmac_f32_e32 v7, 0x3f167918, v18
	v_mul_lo_u16 v27, v33, 10
	v_fma_f32 v25, 0xbf737871, v10, -v11
	v_add_f32_e32 v10, v0, v23
	v_fmac_f32_e32 v22, 0x3e9e377a, v24
	v_fmac_f32_e32 v7, 0x3e9e377a, v24
	v_dual_mul_f32 v24, 0x3f4f1bbd, v137 :: v_dual_sub_f32 v23, v23, v0
	v_sub_nc_u16 v0, v85, v27
	v_mul_f32_e32 v17, 0xbf167918, v135
	v_mul_f32_e32 v18, 0xbf737871, v136
	s_delay_alu instid0(VALU_DEP_4)
	v_fma_f32 v26, 0xbf167918, v134, -v24
	v_add_f32_e32 v19, v7, v25
	v_dual_sub_f32 v24, v7, v25 :: v_dual_and_b32 v7, 0xffff, v84
	v_and_b32_e32 v39, 0xffff, v0
	v_fmac_f32_e32 v17, 0x3f4f1bbd, v138
	v_fmac_f32_e32 v18, 0x3e9e377a, v140
	global_wb scope:SCOPE_SE
	s_wait_dscnt 0x0
	s_barrier_signal -1
	s_barrier_wait -1
	global_inv scope:SCOPE_SE
	v_sub_f32_e32 v25, v29, v26
	ds_store_2addr_b64 v129, v[121:122], v[126:127] offset1:1
	ds_store_2addr_b64 v129, v[132:133], v[124:125] offset0:2 offset1:3
	ds_store_b64 v129, v[1:2] offset:32
	ds_store_2addr_b64 v30, v[12:13], v[3:4] offset1:1
	ds_store_2addr_b64 v30, v[14:15], v[8:9] offset0:2 offset1:3
	v_mul_u32_u24_e32 v1, 0xcccd, v7
	v_lshlrev_b32_e32 v0, 5, v39
	v_dual_add_f32 v11, v16, v17 :: v_dual_and_b32 v2, 0xffff, v86
	v_dual_sub_f32 v16, v16, v17 :: v_dual_sub_f32 v17, v22, v18
	v_add_f32_e32 v18, v22, v18
	v_add_f32_e32 v22, v29, v26
	ds_store_b64 v30, v[5:6] offset:32
	ds_store_2addr_b64 v36, v[10:11], v[18:19] offset1:1
	ds_store_2addr_b64 v36, v[22:23], v[16:17] offset0:2 offset1:3
	v_lshrrev_b32_e32 v34, 19, v1
	ds_store_b64 v36, v[24:25] offset:32
	global_wb scope:SCOPE_SE
	s_wait_dscnt 0x0
	s_barrier_signal -1
	s_barrier_wait -1
	global_inv scope:SCOPE_SE
	s_clause 0x1
	global_load_b128 v[22:25], v0, s[4:5]
	global_load_b128 v[107:110], v0, s[4:5] offset:16
	v_mul_u32_u24_e32 v2, 0xcccd, v2
	v_and_b32_e32 v0, 0xffff, v87
	v_mul_lo_u16 v1, v34, 10
	v_and_b32_e32 v3, 0xffff, v88
	s_delay_alu instid0(VALU_DEP_4) | instskip(NEXT) | instid1(VALU_DEP_4)
	v_lshrrev_b32_e32 v37, 19, v2
	v_mul_u32_u24_e32 v0, 0xcccd, v0
	s_delay_alu instid0(VALU_DEP_4) | instskip(NEXT) | instid1(VALU_DEP_3)
	v_sub_nc_u16 v1, v84, v1
	v_mul_lo_u16 v2, v37, 10
	s_delay_alu instid0(VALU_DEP_3) | instskip(NEXT) | instid1(VALU_DEP_3)
	v_lshrrev_b32_e32 v31, 19, v0
	v_and_b32_e32 v126, 0xffff, v1
	s_delay_alu instid0(VALU_DEP_3) | instskip(NEXT) | instid1(VALU_DEP_3)
	v_sub_nc_u16 v0, v86, v2
	v_mul_lo_u16 v2, v31, 10
	s_delay_alu instid0(VALU_DEP_3) | instskip(NEXT) | instid1(VALU_DEP_3)
	v_lshlrev_b32_e32 v1, 5, v126
	v_and_b32_e32 v125, 0xffff, v0
	s_delay_alu instid0(VALU_DEP_3)
	v_sub_nc_u16 v0, v87, v2
	s_clause 0x1
	global_load_b128 v[132:135], v1, s[4:5]
	global_load_b128 v[136:139], v1, s[4:5] offset:16
	v_lshlrev_b32_e32 v1, 5, v125
	v_and_b32_e32 v32, 0xffff, v0
	s_clause 0x1
	global_load_b128 v[140:143], v1, s[4:5]
	global_load_b128 v[148:151], v1, s[4:5] offset:16
	v_lshlrev_b32_e32 v0, 5, v32
	v_mul_u32_u24_e32 v1, 0xcccd, v3
	s_clause 0x1
	global_load_b128 v[144:147], v0, s[4:5]
	global_load_b128 v[16:19], v0, s[4:5] offset:16
	v_and_b32_e32 v26, 0xff, v78
	v_lshrrev_b32_e32 v35, 19, v1
	s_delay_alu instid0(VALU_DEP_2) | instskip(NEXT) | instid1(VALU_DEP_2)
	v_mul_lo_u16 v2, 0xcd, v26
	v_mul_lo_u16 v0, v35, 10
	s_delay_alu instid0(VALU_DEP_2) | instskip(NEXT) | instid1(VALU_DEP_2)
	v_lshrrev_b16 v127, 11, v2
	v_sub_nc_u16 v0, v88, v0
	s_delay_alu instid0(VALU_DEP_2) | instskip(NEXT) | instid1(VALU_DEP_1)
	v_mul_lo_u16 v2, v127, 10
	v_sub_nc_u16 v1, v78, v2
	s_delay_alu instid0(VALU_DEP_1) | instskip(NEXT) | instid1(VALU_DEP_1)
	v_and_b32_e32 v129, 0xff, v1
	v_lshlrev_b32_e32 v1, 5, v129
	global_load_b128 v[12:15], v1, s[4:5]
	v_and_b32_e32 v124, 0xffff, v0
	s_delay_alu instid0(VALU_DEP_1)
	v_lshlrev_b32_e32 v0, 5, v124
	s_clause 0x2
	global_load_b128 v[8:11], v0, s[4:5]
	global_load_b128 v[4:7], v1, s[4:5] offset:16
	global_load_b128 v[0:3], v0, s[4:5] offset:16
	ds_load_2addr_b32 v[111:112], v115 offset0:49 offset1:184
	ds_load_2addr_b32 v[152:153], v116 offset0:91 offset1:226
	;; [unrolled: 1-line block ×5, first 2 shown]
	s_wait_loadcnt_dscnt 0xb04
	v_mul_f32_e32 v27, v111, v23
	v_mul_f32_e32 v115, v60, v23
	s_wait_loadcnt 0xa
	v_mul_f32_e32 v117, v56, v108
	s_wait_dscnt 0x3
	v_dual_mul_f32 v23, v152, v25 :: v_dual_mul_f32 v118, v54, v110
	v_fma_f32 v120, v60, v22, -v27
	s_wait_dscnt 0x2
	v_dual_fmac_f32 v115, v111, v22 :: v_dual_mul_f32 v22, v154, v108
	s_delay_alu instid0(VALU_DEP_3)
	v_fma_f32 v121, v58, v24, -v23
	v_fmac_f32_e32 v117, v154, v107
	s_wait_dscnt 0x1
	v_mul_f32_e32 v23, v156, v110
	v_fmac_f32_e32 v118, v156, v109
	v_fma_f32 v122, v56, v107, -v22
	s_wait_loadcnt 0x9
	v_mul_f32_e32 v22, v112, v133
	s_wait_loadcnt 0x8
	v_dual_mul_f32 v108, v61, v133 :: v_dual_mul_f32 v107, v55, v139
	s_delay_alu instid0(VALU_DEP_2) | instskip(SKIP_1) | instid1(VALU_DEP_3)
	v_fma_f32 v111, v61, v132, -v22
	v_mul_f32_e32 v22, v153, v135
	v_fmac_f32_e32 v108, v112, v132
	ds_load_2addr_b32 v[131:132], v119 offset0:19 offset1:154
	v_mul_f32_e32 v116, v58, v25
	s_wait_loadcnt_dscnt 0x701
	v_mul_f32_e32 v29, v158, v143
	v_fma_f32 v112, v59, v134, -v22
	v_mul_f32_e32 v22, v157, v139
	v_dual_mul_f32 v56, v50, v143 :: v_dual_mul_f32 v61, v57, v137
	s_wait_loadcnt 0x6
	v_dual_mul_f32 v58, v48, v149 :: v_dual_fmac_f32 v107, v157, v138
	s_delay_alu instid0(VALU_DEP_3)
	v_fma_f32 v119, v55, v138, -v22
	v_mul_f32_e32 v55, v52, v141
	v_fmac_f32_e32 v61, v155, v136
	s_wait_loadcnt_dscnt 0x300
	v_dual_fmac_f32 v58, v131, v148 :: v_dual_mul_f32 v139, v45, v15
	v_fmac_f32_e32 v116, v152, v24
	ds_load_2addr_b32 v[24:25], v123 offset0:63 offset1:198
	v_fma_f32 v123, v54, v109, -v23
	v_mul_f32_e32 v23, v155, v137
	v_mul_f32_e32 v109, v59, v135
	v_fma_f32 v59, v50, v142, -v29
	v_mul_f32_e32 v50, v53, v145
	v_mul_f32_e32 v138, v106, v13
	v_fma_f32 v114, v57, v136, -v23
	ds_load_2addr_b32 v[22:23], v130 offset0:61 offset1:196
	ds_load_b32 v130, v93
	v_mul_f32_e32 v57, v46, v151
	v_fmac_f32_e32 v109, v153, v134
	s_wait_dscnt 0x2
	v_mul_f32_e32 v27, v24, v141
	v_dual_fmac_f32 v55, v24, v140 :: v_dual_mul_f32 v24, v25, v145
	v_fmac_f32_e32 v50, v25, v144
	s_wait_loadcnt 0x1
	v_mul_f32_e32 v141, v41, v7
	v_fma_f32 v60, v52, v140, -v27
	v_mul_f32_e32 v27, v159, v147
	v_fma_f32 v54, v53, v144, -v24
	v_mul_f32_e32 v24, v131, v149
	s_wait_dscnt 0x1
	v_dual_mul_f32 v52, v51, v147 :: v_dual_fmac_f32 v57, v22, v150
	v_fma_f32 v53, v51, v146, -v27
	v_mul_f32_e32 v27, v22, v151
	v_fma_f32 v110, v48, v148, -v24
	ds_load_2addr_b32 v[24:25], v113 offset0:77 offset1:212
	v_mul_f32_e32 v51, v49, v17
	v_mul_f32_e32 v131, v23, v19
	v_fma_f32 v113, v46, v150, -v27
	v_dual_mul_f32 v27, v132, v17 :: v_dual_mul_f32 v48, v47, v19
	s_wait_dscnt 0x1
	v_dual_fmac_f32 v51, v132, v16 :: v_dual_mul_f32 v132, v130, v13
	v_fma_f32 v135, v47, v18, -v131
	s_delay_alu instid0(VALU_DEP_3)
	v_fma_f32 v49, v49, v16, -v27
	ds_load_2addr_b32 v[16:17], v128 offset0:119 offset1:254
	ds_load_b32 v29, v94
	ds_load_b32 v27, v95
	;; [unrolled: 1-line block ×5, first 2 shown]
	ds_load_b32 v19, v38 offset:15660
	ds_load_2addr_b32 v[136:137], v104 offset0:33 offset1:168
	v_mul_f32_e32 v104, v44, v9
	v_fmac_f32_e32 v48, v23, v18
	v_fma_f32 v18, v106, v12, -v132
	v_fmac_f32_e32 v138, v130, v12
	v_mul_lo_u16 v26, v26, 41
	s_wait_dscnt 0x8
	v_mul_f32_e32 v13, v25, v15
	v_mul_f32_e32 v15, v24, v9
	v_dual_fmac_f32 v104, v24, v8 :: v_dual_fmac_f32 v139, v25, v14
	s_wait_loadcnt 0x0
	v_mul_f32_e32 v130, v40, v1
	v_fma_f32 v12, v45, v14, -v13
	v_fma_f32 v131, v44, v8, -v15
	s_wait_dscnt 0x7
	v_dual_mul_f32 v8, v17, v5 :: v_dual_mul_f32 v9, v16, v11
	v_add_nc_u32_e32 v45, 0x3a00, v38
	s_wait_dscnt 0x0
	v_fmac_f32_e32 v141, v137, v6
	s_delay_alu instid0(VALU_DEP_3) | instskip(SKIP_3) | instid1(VALU_DEP_4)
	v_fma_f32 v8, v43, v4, -v8
	v_dual_mul_f32 v140, v43, v5 :: v_dual_mul_f32 v5, v137, v7
	v_and_b32_e32 v7, 0xffff, v127
	v_fma_f32 v132, v42, v10, -v9
	v_sub_f32_e32 v137, v12, v8
	s_delay_alu instid0(VALU_DEP_4) | instskip(SKIP_4) | instid1(VALU_DEP_4)
	v_fmac_f32_e32 v140, v17, v4
	v_mul_f32_e32 v4, v136, v1
	v_fma_f32 v5, v41, v6, -v5
	v_dual_mul_f32 v1, v19, v3 :: v_dual_fmac_f32 v130, v136, v0
	v_add_nc_u32_e32 v41, 0x3200, v38
	v_fma_f32 v133, v40, v0, -v4
	v_add_f32_e32 v4, v12, v8
	s_delay_alu instid0(VALU_DEP_4)
	v_fma_f32 v134, v105, v2, -v1
	v_sub_f32_e32 v6, v5, v8
	v_mul_f32_e32 v105, v105, v3
	v_sub_f32_e32 v3, v138, v141
	v_fma_f32 v1, -0.5, v4, v103
	v_sub_f32_e32 v4, v18, v12
	v_add_f32_e32 v0, v103, v18
	v_fmac_f32_e32 v105, v19, v2
	s_delay_alu instid0(VALU_DEP_4) | instskip(NEXT) | instid1(VALU_DEP_4)
	v_dual_sub_f32 v2, v12, v18 :: v_dual_fmamk_f32 v9, v3, 0x3f737871, v1
	v_add_f32_e32 v4, v4, v6
	v_dual_mul_f32 v106, v42, v11 :: v_dual_lshlrev_b32 v11, 2, v129
	v_fmac_f32_e32 v56, v158, v142
	v_mul_u32_u24_e32 v6, 0xc8, v7
	v_dual_add_f32 v7, v18, v5 :: v_dual_fmac_f32 v52, v159, v146
	s_delay_alu instid0(VALU_DEP_4) | instskip(SKIP_1) | instid1(VALU_DEP_3)
	v_fmac_f32_e32 v106, v16, v10
	v_dual_sub_f32 v10, v139, v140 :: v_dual_fmac_f32 v1, 0xbf737871, v3
	v_dual_fmac_f32 v103, -0.5, v7 :: v_dual_add_f32 v0, v0, v12
	v_add3_u32 v129, 0, v6, v11
	s_delay_alu instid0(VALU_DEP_3) | instskip(NEXT) | instid1(VALU_DEP_4)
	v_fmac_f32_e32 v9, 0x3f167918, v10
	v_fmac_f32_e32 v1, 0xbf167918, v10
	s_delay_alu instid0(VALU_DEP_4)
	v_fmamk_f32 v7, v10, 0xbf737871, v103
	v_dual_fmac_f32 v103, 0x3f737871, v10 :: v_dual_lshlrev_b32 v10, 2, v39
	v_mul_u32_u24_e32 v11, 0xc8, v33
	v_add_f32_e32 v0, v0, v8
	v_fmac_f32_e32 v9, 0x3e9e377a, v4
	v_fmac_f32_e32 v7, 0x3f167918, v3
	;; [unrolled: 1-line block ×3, first 2 shown]
	v_add3_u32 v127, 0, v11, v10
	v_sub_f32_e32 v10, v109, v61
	v_sub_f32_e32 v6, v8, v5
	v_add_f32_e32 v0, v0, v5
	ds_load_b32 v142, v38
	global_wb scope:SCOPE_SE
	s_wait_dscnt 0x0
	s_barrier_signal -1
	v_add_f32_e32 v2, v2, v6
	s_barrier_wait -1
	global_inv scope:SCOPE_SE
	ds_store_2addr_b32 v129, v0, v9 offset1:10
	v_add_f32_e32 v0, v121, v122
	v_fmac_f32_e32 v7, 0x3e9e377a, v2
	v_dual_fmac_f32 v103, 0x3e9e377a, v2 :: v_dual_sub_f32 v2, v120, v121
	v_sub_f32_e32 v3, v123, v122
	v_dual_fmac_f32 v1, 0x3e9e377a, v4 :: v_dual_sub_f32 v136, v18, v5
	v_add_f32_e32 v4, v120, v123
	v_fma_f32 v0, -0.5, v0, v102
	s_delay_alu instid0(VALU_DEP_4) | instskip(SKIP_1) | instid1(VALU_DEP_4)
	v_dual_sub_f32 v5, v115, v118 :: v_dual_add_f32 v2, v2, v3
	v_add_f32_e32 v3, v102, v120
	v_fmac_f32_e32 v102, -0.5, v4
	v_sub_f32_e32 v4, v116, v117
	s_delay_alu instid0(VALU_DEP_4)
	v_fmamk_f32 v6, v5, 0x3f737871, v0
	ds_store_2addr_b32 v129, v7, v103 offset0:20 offset1:30
	v_add_f32_e32 v3, v3, v121
	v_fmac_f32_e32 v0, 0xbf737871, v5
	v_fmamk_f32 v9, v4, 0xbf737871, v102
	v_fmac_f32_e32 v6, 0x3f167918, v4
	s_delay_alu instid0(VALU_DEP_4) | instskip(SKIP_1) | instid1(VALU_DEP_4)
	v_dual_fmac_f32 v102, 0x3f737871, v4 :: v_dual_add_f32 v3, v3, v122
	v_sub_f32_e32 v7, v121, v120
	v_fmac_f32_e32 v9, 0x3f167918, v5
	s_delay_alu instid0(VALU_DEP_4) | instskip(NEXT) | instid1(VALU_DEP_4)
	v_fmac_f32_e32 v6, 0x3e9e377a, v2
	v_dual_fmac_f32 v102, 0xbf167918, v5 :: v_dual_add_f32 v3, v3, v123
	ds_store_b32 v129, v1 offset:160
	ds_store_2addr_b32 v127, v3, v6 offset1:10
	v_add_f32_e32 v1, v112, v114
	v_sub_f32_e32 v5, v108, v107
	v_sub_f32_e32 v8, v122, v123
	v_dual_fmac_f32 v0, 0xbf167918, v4 :: v_dual_sub_f32 v3, v119, v114
	s_delay_alu instid0(VALU_DEP_4) | instskip(SKIP_1) | instid1(VALU_DEP_4)
	v_fma_f32 v1, -0.5, v1, v101
	v_add_f32_e32 v6, v111, v119
	v_dual_add_f32 v4, v7, v8 :: v_dual_sub_f32 v7, v138, v139
	v_sub_f32_e32 v11, v49, v135
	v_sub_f32_e32 v13, v133, v134
	;; [unrolled: 1-line block ×3, first 2 shown]
	s_delay_alu instid0(VALU_DEP_4)
	v_fmac_f32_e32 v9, 0x3e9e377a, v4
	v_fmac_f32_e32 v102, 0x3e9e377a, v4
	v_dual_sub_f32 v12, v132, v131 :: v_dual_add_nc_u32 v33, 0x1800, v38
	v_dual_sub_f32 v120, v120, v123 :: v_dual_add_nc_u32 v43, 0x3600, v38
	ds_store_2addr_b32 v127, v9, v102 offset0:20 offset1:30
	v_fmamk_f32 v9, v5, 0x3f737871, v1
	v_fmac_f32_e32 v1, 0xbf737871, v5
	v_add_nc_u32_e32 v42, 0x2000, v38
	v_add_nc_u32_e32 v44, 0x2500, v38
	v_lshl_add_u32 v39, v91, 2, 0
	v_fmac_f32_e32 v9, 0x3f167918, v10
	v_fmac_f32_e32 v1, 0xbf167918, v10
	;; [unrolled: 1-line block ×3, first 2 shown]
	v_sub_f32_e32 v2, v111, v112
	v_lshl_add_u32 v40, v92, 2, 0
	ds_store_b32 v127, v0 offset:160
	v_add_f32_e32 v2, v2, v3
	s_delay_alu instid0(VALU_DEP_1) | instskip(NEXT) | instid1(VALU_DEP_1)
	v_dual_sub_f32 v8, v141, v140 :: v_dual_fmac_f32 v1, 0x3e9e377a, v2
	v_add_f32_e32 v143, v7, v8
	v_lshlrev_b32_e32 v7, 2, v126
	v_mul_u32_u24_e32 v8, 0xc8, v34
	v_dual_fmac_f32 v9, 0x3e9e377a, v2 :: v_dual_add_f32 v2, v100, v60
	v_add_nc_u32_e32 v34, 0x2e00, v38
	s_delay_alu instid0(VALU_DEP_3) | instskip(SKIP_1) | instid1(VALU_DEP_4)
	v_add3_u32 v126, 0, v8, v7
	v_sub_f32_e32 v8, v56, v58
	v_add_f32_e32 v2, v2, v59
	ds_store_b32 v126, v1 offset:160
	v_dual_sub_f32 v1, v50, v48 :: v_dual_add_f32 v4, v101, v111
	v_dual_fmac_f32 v101, -0.5, v6 :: v_dual_sub_f32 v6, v114, v119
	v_add_f32_e32 v2, v2, v110
	s_delay_alu instid0(VALU_DEP_2) | instskip(NEXT) | instid1(VALU_DEP_2)
	v_dual_add_f32 v4, v4, v112 :: v_dual_fmamk_f32 v7, v10, 0xbf737871, v101
	v_dual_fmac_f32 v101, 0x3f737871, v10 :: v_dual_add_f32 v2, v2, v113
	s_delay_alu instid0(VALU_DEP_2) | instskip(NEXT) | instid1(VALU_DEP_3)
	v_add_f32_e32 v3, v4, v114
	v_dual_sub_f32 v4, v112, v111 :: v_dual_fmac_f32 v7, 0x3f167918, v5
	s_delay_alu instid0(VALU_DEP_3) | instskip(SKIP_1) | instid1(VALU_DEP_3)
	v_fmac_f32_e32 v101, 0xbf167918, v5
	v_sub_f32_e32 v5, v113, v110
	v_dual_add_f32 v3, v3, v119 :: v_dual_add_f32 v4, v4, v6
	v_add_f32_e32 v6, v59, v110
	v_dual_sub_f32 v111, v111, v119 :: v_dual_sub_f32 v112, v112, v114
	ds_store_2addr_b32 v126, v3, v9 offset1:10
	v_fmac_f32_e32 v7, 0x3e9e377a, v4
	v_dual_fmac_f32 v101, 0x3e9e377a, v4 :: v_dual_sub_f32 v4, v60, v59
	v_fma_f32 v0, -0.5, v6, v100
	v_sub_f32_e32 v3, v55, v57
	v_mul_u32_u24_e32 v9, 0xc8, v37
	ds_store_2addr_b32 v126, v7, v101 offset0:20 offset1:30
	v_add_f32_e32 v4, v4, v5
	v_dual_add_f32 v5, v60, v113 :: v_dual_fmamk_f32 v6, v3, 0x3f737871, v0
	v_dual_fmac_f32 v0, 0xbf737871, v3 :: v_dual_sub_f32 v7, v110, v113
	s_delay_alu instid0(VALU_DEP_2) | instskip(NEXT) | instid1(VALU_DEP_3)
	v_dual_add_f32 v119, v108, v107 :: v_dual_fmac_f32 v100, -0.5, v5
	v_dual_fmac_f32 v6, 0x3f167918, v8 :: v_dual_lshlrev_b32 v5, 2, v125
	s_delay_alu instid0(VALU_DEP_3) | instskip(SKIP_1) | instid1(VALU_DEP_4)
	v_fmac_f32_e32 v0, 0xbf167918, v8
	v_lshl_add_u32 v37, v90, 2, 0
	v_fmamk_f32 v10, v8, 0xbf737871, v100
	v_fmac_f32_e32 v100, 0x3f737871, v8
	v_fmac_f32_e32 v6, 0x3e9e377a, v4
	v_add3_u32 v125, 0, v9, v5
	v_fmac_f32_e32 v0, 0x3e9e377a, v4
	v_sub_f32_e32 v4, v59, v60
	v_fmac_f32_e32 v100, 0xbf167918, v3
	v_fmac_f32_e32 v10, 0x3f167918, v3
	ds_store_2addr_b32 v125, v2, v6 offset1:10
	v_sub_f32_e32 v2, v54, v53
	v_dual_sub_f32 v6, v135, v49 :: v_dual_add_f32 v3, v54, v135
	v_dual_sub_f32 v8, v52, v51 :: v_dual_sub_f32 v9, v53, v54
	v_sub_f32_e32 v60, v60, v113
	s_delay_alu instid0(VALU_DEP_3) | instskip(SKIP_3) | instid1(VALU_DEP_2)
	v_add_f32_e32 v2, v2, v6
	v_add_f32_e32 v6, v28, v54
	v_dual_add_f32 v4, v4, v7 :: v_dual_add_f32 v7, v53, v49
	v_dual_sub_f32 v59, v59, v110 :: v_dual_sub_f32 v54, v54, v135
	v_fmac_f32_e32 v10, 0x3e9e377a, v4
	s_delay_alu instid0(VALU_DEP_3) | instskip(SKIP_2) | instid1(VALU_DEP_3)
	v_fma_f32 v5, -0.5, v7, v28
	v_fmac_f32_e32 v28, -0.5, v3
	v_fmac_f32_e32 v100, 0x3e9e377a, v4
	v_dual_sub_f32 v4, v131, v132 :: v_dual_fmamk_f32 v7, v1, 0x3f737871, v5
	v_fmac_f32_e32 v5, 0xbf737871, v1
	s_delay_alu instid0(VALU_DEP_4)
	v_fmamk_f32 v3, v8, 0xbf737871, v28
	v_fmac_f32_e32 v28, 0x3f737871, v8
	ds_store_2addr_b32 v125, v10, v100 offset0:20 offset1:30
	v_fmac_f32_e32 v7, 0x3f167918, v8
	v_dual_fmac_f32 v5, 0xbf167918, v8 :: v_dual_add_f32 v8, v132, v133
	v_fmac_f32_e32 v3, 0x3f167918, v1
	v_fmac_f32_e32 v28, 0xbf167918, v1
	s_delay_alu instid0(VALU_DEP_4) | instskip(NEXT) | instid1(VALU_DEP_4)
	v_fmac_f32_e32 v7, 0x3e9e377a, v2
	v_dual_fmac_f32 v5, 0x3e9e377a, v2 :: v_dual_add_f32 v2, v9, v11
	v_sub_f32_e32 v9, v134, v133
	v_add_f32_e32 v1, v131, v134
	v_fma_f32 v8, -0.5, v8, v99
	s_delay_alu instid0(VALU_DEP_4) | instskip(NEXT) | instid1(VALU_DEP_4)
	v_dual_sub_f32 v10, v104, v105 :: v_dual_fmac_f32 v3, 0x3e9e377a, v2
	v_dual_add_f32 v4, v4, v9 :: v_dual_add_f32 v9, v99, v131
	s_delay_alu instid0(VALU_DEP_4) | instskip(SKIP_1) | instid1(VALU_DEP_4)
	v_fmac_f32_e32 v99, -0.5, v1
	v_sub_f32_e32 v1, v106, v130
	v_fmamk_f32 v11, v10, 0x3f737871, v8
	v_fmac_f32_e32 v8, 0xbf737871, v10
	v_fmac_f32_e32 v28, 0x3e9e377a, v2
	v_lshlrev_b32_e32 v2, 2, v32
	v_fmamk_f32 v14, v1, 0xbf737871, v99
	v_fmac_f32_e32 v99, 0x3f737871, v1
	v_fmac_f32_e32 v11, 0x3f167918, v1
	;; [unrolled: 1-line block ×3, first 2 shown]
	s_delay_alu instid0(VALU_DEP_4) | instskip(NEXT) | instid1(VALU_DEP_4)
	v_dual_add_f32 v1, v12, v13 :: v_dual_fmac_f32 v14, 0x3f167918, v10
	v_dual_fmac_f32 v99, 0xbf167918, v10 :: v_dual_add_f32 v10, v139, v140
	s_delay_alu instid0(VALU_DEP_4) | instskip(NEXT) | instid1(VALU_DEP_4)
	v_fmac_f32_e32 v11, 0x3e9e377a, v4
	v_fmac_f32_e32 v8, 0x3e9e377a, v4
	v_mul_u32_u24_e32 v4, 0xc8, v31
	s_delay_alu instid0(VALU_DEP_4)
	v_fmac_f32_e32 v99, 0x3e9e377a, v1
	v_fma_f32 v145, -0.5, v10, v142
	ds_store_b32 v125, v0 offset:160
	v_add_f32_e32 v0, v142, v138
	v_add3_u32 v144, 0, v4, v2
	v_lshlrev_b32_e32 v2, 2, v124
	v_fmamk_f32 v124, v136, 0xbf737871, v145
	v_fmac_f32_e32 v145, 0x3f737871, v136
	v_fmac_f32_e32 v14, 0x3e9e377a, v1
	v_add_f32_e32 v0, v0, v139
	v_add_f32_e32 v4, v9, v132
	v_fmac_f32_e32 v124, 0xbf167918, v137
	v_fmac_f32_e32 v145, 0x3f167918, v137
	v_add_f32_e32 v1, v6, v53
	v_mul_u32_u24_e32 v6, 0xc8, v35
	v_add_f32_e32 v0, v0, v140
	v_add_f32_e32 v4, v4, v133
	s_delay_alu instid0(VALU_DEP_4) | instskip(NEXT) | instid1(VALU_DEP_4)
	v_dual_fmac_f32 v124, 0x3e9e377a, v143 :: v_dual_add_f32 v1, v1, v49
	v_add3_u32 v146, 0, v6, v2
	s_delay_alu instid0(VALU_DEP_4) | instskip(NEXT) | instid1(VALU_DEP_4)
	v_add_f32_e32 v147, v0, v141
	v_add_f32_e32 v0, v4, v134
	v_add_nc_u32_e32 v31, 0x1400, v38
	v_add_f32_e32 v1, v1, v135
	ds_store_2addr_b32 v144, v1, v7 offset1:10
	ds_store_2addr_b32 v144, v3, v28 offset0:20 offset1:30
	ds_store_b32 v144, v5 offset:160
	ds_store_2addr_b32 v146, v0, v11 offset1:10
	ds_store_2addr_b32 v146, v14, v99 offset0:20 offset1:30
	ds_store_b32 v146, v8 offset:160
	v_add_f32_e32 v0, v138, v141
	v_dual_sub_f32 v138, v139, v138 :: v_dual_sub_f32 v139, v140, v141
	v_add_nc_u32_e32 v32, 0x2a00, v38
	s_delay_alu instid0(VALU_DEP_3)
	v_dual_fmac_f32 v142, -0.5, v0 :: v_dual_add_nc_u32 v35, 0x1c00, v38
	global_wb scope:SCOPE_SE
	s_wait_dscnt 0x0
	v_add_f32_e32 v138, v138, v139
	s_barrier_signal -1
	s_barrier_wait -1
	v_fmamk_f32 v140, v137, 0x3f737871, v142
	v_fmac_f32_e32 v142, 0xbf737871, v137
	global_inv scope:SCOPE_SE
	ds_load_b32 v103, v38
	ds_load_b32 v102, v98
	ds_load_b32 v100, v97
	v_fmac_f32_e32 v140, 0xbf167918, v136
	v_fmac_f32_e32 v142, 0x3f167918, v136
	ds_load_b32 v28, v96
	ds_load_b32 v25, v37
	;; [unrolled: 1-line block ×7, first 2 shown]
	ds_load_2addr_b32 v[18:19], v31 offset0:70 offset1:205
	ds_load_2addr_b32 v[14:15], v32 offset0:12 offset1:147
	;; [unrolled: 1-line block ×10, first 2 shown]
	global_wb scope:SCOPE_SE
	s_wait_dscnt 0x0
	s_barrier_signal -1
	s_barrier_wait -1
	v_fmac_f32_e32 v140, 0x3e9e377a, v138
	v_fmac_f32_e32 v142, 0x3e9e377a, v138
	global_inv scope:SCOPE_SE
	ds_store_2addr_b32 v129, v147, v124 offset1:10
	v_add_f32_e32 v124, v116, v117
	v_add_f32_e32 v136, v128, v115
	v_dual_add_f32 v138, v115, v118 :: v_dual_sub_f32 v49, v53, v49
	v_fmac_f32_e32 v145, 0x3e9e377a, v143
	s_delay_alu instid0(VALU_DEP_4) | instskip(NEXT) | instid1(VALU_DEP_4)
	v_fma_f32 v123, -0.5, v124, v128
	v_add_f32_e32 v122, v136, v116
	s_delay_alu instid0(VALU_DEP_4) | instskip(SKIP_2) | instid1(VALU_DEP_4)
	v_fmac_f32_e32 v128, -0.5, v138
	v_sub_f32_e32 v124, v115, v116
	v_dual_sub_f32 v136, v118, v117 :: v_dual_sub_f32 v115, v116, v115
	v_add_f32_e32 v122, v122, v117
	v_sub_f32_e32 v116, v117, v118
	v_fmamk_f32 v117, v121, 0x3f737871, v128
	v_dual_fmac_f32 v128, 0xbf737871, v121 :: v_dual_fmamk_f32 v137, v120, 0xbf737871, v123
	s_delay_alu instid0(VALU_DEP_3) | instskip(NEXT) | instid1(VALU_DEP_3)
	v_dual_add_f32 v122, v122, v118 :: v_dual_add_f32 v115, v115, v116
	v_fmac_f32_e32 v117, 0xbf167918, v120
	s_delay_alu instid0(VALU_DEP_3) | instskip(SKIP_1) | instid1(VALU_DEP_3)
	v_fmac_f32_e32 v128, 0x3f167918, v120
	v_dual_fmac_f32 v123, 0x3f737871, v120 :: v_dual_add_f32 v116, v109, v61
	v_dual_sub_f32 v118, v107, v61 :: v_dual_fmac_f32 v117, 0x3e9e377a, v115
	s_delay_alu instid0(VALU_DEP_3) | instskip(SKIP_1) | instid1(VALU_DEP_4)
	v_dual_fmac_f32 v128, 0x3e9e377a, v115 :: v_dual_sub_f32 v115, v108, v109
	v_add_f32_e32 v120, v46, v108
	v_fma_f32 v116, -0.5, v116, v46
	v_fmac_f32_e32 v46, -0.5, v119
	v_sub_f32_e32 v108, v109, v108
	v_add_f32_e32 v114, v115, v118
	s_delay_alu instid0(VALU_DEP_4) | instskip(SKIP_3) | instid1(VALU_DEP_4)
	v_dual_add_f32 v118, v120, v109 :: v_dual_fmamk_f32 v115, v111, 0xbf737871, v116
	v_fmac_f32_e32 v116, 0x3f737871, v111
	v_sub_f32_e32 v109, v61, v107
	v_fmamk_f32 v119, v112, 0x3f737871, v46
	v_dual_fmac_f32 v46, 0xbf737871, v112 :: v_dual_add_f32 v61, v118, v61
	v_fmac_f32_e32 v115, 0xbf167918, v112
	v_fmac_f32_e32 v116, 0x3f167918, v112
	s_delay_alu instid0(VALU_DEP_4) | instskip(NEXT) | instid1(VALU_DEP_4)
	v_dual_add_f32 v108, v108, v109 :: v_dual_fmac_f32 v119, 0xbf167918, v111
	v_fmac_f32_e32 v46, 0x3f167918, v111
	v_add_f32_e32 v61, v61, v107
	v_add_f32_e32 v107, v56, v58
	v_dual_add_f32 v111, v55, v57 :: v_dual_add_f32 v112, v29, v55
	v_fmac_f32_e32 v119, 0x3e9e377a, v108
	v_fmac_f32_e32 v46, 0x3e9e377a, v108
	v_dual_sub_f32 v108, v55, v56 :: v_dual_sub_f32 v109, v57, v58
	v_fma_f32 v107, -0.5, v107, v29
	v_dual_fmac_f32 v29, -0.5, v111 :: v_dual_add_f32 v110, v112, v56
	v_sub_f32_e32 v55, v56, v55
	s_delay_alu instid0(VALU_DEP_4) | instskip(NEXT) | instid1(VALU_DEP_4)
	v_add_f32_e32 v108, v108, v109
	v_fmamk_f32 v109, v60, 0xbf737871, v107
	v_dual_fmac_f32 v107, 0x3f737871, v60 :: v_dual_sub_f32 v56, v58, v57
	v_fmamk_f32 v111, v59, 0x3f737871, v29
	v_dual_fmac_f32 v29, 0xbf737871, v59 :: v_dual_add_f32 v58, v110, v58
	s_delay_alu instid0(VALU_DEP_4) | instskip(NEXT) | instid1(VALU_DEP_4)
	v_fmac_f32_e32 v109, 0xbf167918, v59
	v_fmac_f32_e32 v107, 0x3f167918, v59
	v_add_f32_e32 v55, v55, v56
	v_fmac_f32_e32 v111, 0xbf167918, v60
	v_dual_fmac_f32 v29, 0x3f167918, v60 :: v_dual_add_f32 v56, v58, v57
	v_add_f32_e32 v57, v52, v51
	v_add_f32_e32 v59, v50, v48
	s_delay_alu instid0(VALU_DEP_4) | instskip(NEXT) | instid1(VALU_DEP_4)
	v_fmac_f32_e32 v111, 0x3e9e377a, v55
	v_fmac_f32_e32 v29, 0x3e9e377a, v55
	v_dual_sub_f32 v55, v50, v52 :: v_dual_sub_f32 v58, v48, v51
	v_fma_f32 v57, -0.5, v57, v27
	v_dual_add_f32 v60, v27, v50 :: v_dual_fmac_f32 v27, -0.5, v59
	v_sub_f32_e32 v50, v52, v50
	s_delay_alu instid0(VALU_DEP_4) | instskip(NEXT) | instid1(VALU_DEP_3)
	v_dual_add_f32 v53, v55, v58 :: v_dual_add_f32 v124, v124, v136
	v_dual_fmamk_f32 v55, v54, 0xbf737871, v57 :: v_dual_add_f32 v58, v60, v52
	v_dual_fmac_f32 v57, 0x3f737871, v54 :: v_dual_sub_f32 v52, v51, v48
	v_fmamk_f32 v59, v49, 0x3f737871, v27
	v_fmac_f32_e32 v27, 0xbf737871, v49
	s_delay_alu instid0(VALU_DEP_4) | instskip(NEXT) | instid1(VALU_DEP_4)
	v_fmac_f32_e32 v55, 0xbf167918, v49
	v_fmac_f32_e32 v57, 0x3f167918, v49
	v_add_f32_e32 v49, v50, v52
	v_fmac_f32_e32 v59, 0xbf167918, v54
	v_fmac_f32_e32 v27, 0x3f167918, v54
	v_add_f32_e32 v50, v106, v130
	v_add_f32_e32 v51, v58, v51
	v_fmac_f32_e32 v55, 0x3e9e377a, v53
	v_fmac_f32_e32 v59, 0x3e9e377a, v49
	v_fmac_f32_e32 v27, 0x3e9e377a, v49
	v_sub_f32_e32 v49, v131, v134
	v_fma_f32 v50, -0.5, v50, v22
	v_dual_add_f32 v48, v51, v48 :: v_dual_fmac_f32 v57, 0x3e9e377a, v53
	v_sub_f32_e32 v51, v104, v106
	v_dual_sub_f32 v52, v105, v130 :: v_dual_add_f32 v53, v104, v105
	v_add_f32_e32 v54, v22, v104
	v_sub_f32_e32 v58, v132, v133
	v_fmamk_f32 v60, v49, 0xbf737871, v50
	s_delay_alu instid0(VALU_DEP_4) | instskip(SKIP_2) | instid1(VALU_DEP_4)
	v_dual_fmac_f32 v50, 0x3f737871, v49 :: v_dual_add_f32 v51, v51, v52
	v_fmac_f32_e32 v22, -0.5, v53
	v_add_f32_e32 v52, v54, v106
	v_fmac_f32_e32 v60, 0xbf167918, v58
	s_delay_alu instid0(VALU_DEP_4)
	v_fmac_f32_e32 v50, 0x3f167918, v58
	v_fmac_f32_e32 v137, 0xbf167918, v121
	v_sub_f32_e32 v53, v106, v104
	v_sub_f32_e32 v54, v130, v105
	v_fmamk_f32 v104, v58, 0x3f737871, v22
	v_fmac_f32_e32 v22, 0xbf737871, v58
	v_add_f32_e32 v52, v52, v130
	v_fmac_f32_e32 v60, 0x3e9e377a, v51
	v_fmac_f32_e32 v50, 0x3e9e377a, v51
	v_lshrrev_b16 v51, 1, v85
	v_fmac_f32_e32 v123, 0x3f167918, v121
	v_fmac_f32_e32 v137, 0x3e9e377a, v124
	;; [unrolled: 1-line block ×3, first 2 shown]
	v_add_f32_e32 v53, v53, v54
	v_fmac_f32_e32 v116, 0x3e9e377a, v114
	v_fmac_f32_e32 v104, 0xbf167918, v49
	;; [unrolled: 1-line block ×3, first 2 shown]
	v_add_f32_e32 v49, v52, v105
	v_lshrrev_b16 v52, 11, v26
	v_and_b32_e32 v26, 0xffff, v51
	v_fmac_f32_e32 v123, 0x3e9e377a, v124
	ds_store_b32 v129, v145 offset:160
	v_fmac_f32_e32 v109, 0x3e9e377a, v108
	v_fmac_f32_e32 v107, 0x3e9e377a, v108
	ds_store_2addr_b32 v129, v140, v142 offset0:20 offset1:30
	ds_store_2addr_b32 v127, v122, v137 offset1:10
	ds_store_2addr_b32 v127, v117, v128 offset0:20 offset1:30
	ds_store_b32 v127, v123 offset:160
	ds_store_2addr_b32 v126, v61, v115 offset1:10
	ds_store_2addr_b32 v126, v119, v46 offset0:20 offset1:30
	ds_store_b32 v126, v116 offset:160
	v_mul_lo_u16 v46, v52, 50
	v_mul_u32_u24_e32 v26, 0x147b, v26
	ds_store_2addr_b32 v125, v56, v109 offset1:10
	ds_store_2addr_b32 v125, v111, v29 offset0:20 offset1:30
	ds_store_b32 v125, v107 offset:160
	v_fmac_f32_e32 v104, 0x3e9e377a, v53
	v_sub_nc_u16 v29, v78, v46
	v_lshrrev_b32_e32 v51, 17, v26
	v_fmac_f32_e32 v22, 0x3e9e377a, v53
	ds_store_2addr_b32 v144, v48, v55 offset1:10
	ds_store_2addr_b32 v144, v59, v27 offset0:20 offset1:30
	ds_store_b32 v144, v57 offset:160
	v_and_b32_e32 v54, 0xff, v29
	v_lshrrev_b16 v26, 1, v84
	v_lshrrev_b16 v27, 1, v86
	v_mul_lo_u16 v29, v51, 50
	ds_store_2addr_b32 v146, v49, v60 offset1:10
	ds_store_2addr_b32 v146, v104, v22 offset0:20 offset1:30
	ds_store_b32 v146, v50 offset:160
	v_and_b32_e32 v46, 0xffff, v26
	v_and_b32_e32 v22, 0xffff, v27
	v_sub_nc_u16 v27, v85, v29
	v_lshlrev_b32_e32 v26, 4, v54
	global_wb scope:SCOPE_SE
	s_wait_dscnt 0x0
	v_mul_u32_u24_e32 v29, 0x147b, v46
	v_mul_u32_u24_e32 v48, 0x147b, v22
	v_and_b32_e32 v56, 0xffff, v27
	v_lshrrev_b16 v27, 1, v87
	s_barrier_signal -1
	v_lshrrev_b32_e32 v55, 17, v29
	v_lshrrev_b32_e32 v53, 17, v48
	v_lshlrev_b32_e32 v29, 4, v56
	s_barrier_wait -1
	global_inv scope:SCOPE_SE
	v_mul_lo_u16 v48, v55, 50
	v_mul_lo_u16 v49, v53, 50
	s_clause 0x1
	global_load_b128 v[104:107], v26, s[4:5] offset:320
	global_load_b128 v[108:111], v29, s[4:5] offset:320
	v_and_b32_e32 v27, 0xffff, v27
	v_lshrrev_b16 v26, 1, v88
	v_sub_nc_u16 v48, v84, v48
	v_sub_nc_u16 v29, v86, v49
	s_delay_alu instid0(VALU_DEP_4) | instskip(NEXT) | instid1(VALU_DEP_4)
	v_mul_u32_u24_e32 v49, 0x147b, v27
	v_and_b32_e32 v26, 0xffff, v26
	s_delay_alu instid0(VALU_DEP_4) | instskip(NEXT) | instid1(VALU_DEP_4)
	v_and_b32_e32 v60, 0xffff, v48
	v_and_b32_e32 v58, 0xffff, v29
	v_mul_u32_u24_e32 v27, 0xda75, v27
	v_lshrrev_b32_e32 v57, 17, v49
	v_mul_u32_u24_e32 v29, 0x147b, v26
	v_lshrrev_b16 v49, 1, v89
	v_lshlrev_b32_e32 v48, 4, v60
	v_lshlrev_b32_e32 v61, 4, v58
	v_mul_lo_u16 v112, v57, 50
	v_lshrrev_b32_e32 v59, 17, v29
	v_and_b32_e32 v50, 0xffff, v49
	s_clause 0x1
	global_load_b128 v[119:122], v48, s[4:5] offset:320
	global_load_b128 v[123:126], v61, s[4:5] offset:320
	v_sub_nc_u16 v48, v87, v112
	v_mul_lo_u16 v49, v59, 50
	v_mul_u32_u24_e32 v61, 0x147b, v50
	v_lshrrev_b16 v29, 1, v90
	s_delay_alu instid0(VALU_DEP_4) | instskip(NEXT) | instid1(VALU_DEP_4)
	v_and_b32_e32 v137, 0xffff, v48
	v_sub_nc_u16 v48, v88, v49
	s_delay_alu instid0(VALU_DEP_4) | instskip(NEXT) | instid1(VALU_DEP_4)
	v_lshrrev_b32_e32 v160, 17, v61
	v_and_b32_e32 v29, 0xffff, v29
	v_lshrrev_b16 v49, 1, v91
	v_lshlrev_b32_e32 v112, 4, v137
	v_and_b32_e32 v161, 0xffff, v48
	v_mul_lo_u16 v48, v160, 50
	v_mul_u32_u24_e32 v61, 0x147b, v29
	v_and_b32_e32 v49, 0xffff, v49
	global_load_b128 v[127:130], v112, s[4:5] offset:320
	v_lshlrev_b32_e32 v114, 4, v161
	v_sub_nc_u16 v113, v89, v48
	v_lshrrev_b32_e32 v135, 17, v61
	v_lshrrev_b16 v61, 1, v92
	v_mul_u32_u24_e32 v29, 0xda75, v29
	global_load_b128 v[138:141], v114, s[4:5] offset:320
	v_and_b32_e32 v163, 0xffff, v113
	v_mul_u32_u24_e32 v112, 0x147b, v49
	v_mul_lo_u16 v115, v135, 50
	v_and_b32_e32 v48, 0xffff, v61
	v_lshrrev_b32_e32 v29, 22, v29
	v_lshlrev_b32_e32 v114, 4, v163
	v_lshrrev_b32_e32 v162, 17, v112
	v_sub_nc_u16 v61, v90, v115
	v_mul_u32_u24_e32 v112, 0x147b, v48
	v_mul_u32_u24_e32 v49, 0xda75, v49
	global_load_b128 v[142:145], v114, s[4:5] offset:320
	v_mul_lo_u16 v113, v162, 50
	v_and_b32_e32 v164, 0xffff, v61
	v_lshrrev_b32_e32 v136, 17, v112
	s_delay_alu instid0(VALU_DEP_3) | instskip(NEXT) | instid1(VALU_DEP_3)
	v_sub_nc_u16 v61, v91, v113
	v_lshlrev_b32_e32 v113, 4, v164
	s_delay_alu instid0(VALU_DEP_3) | instskip(NEXT) | instid1(VALU_DEP_3)
	v_mul_lo_u16 v112, v136, 50
	v_and_b32_e32 v165, 0xffff, v61
	global_load_b128 v[146:149], v113, s[4:5] offset:320
	v_sub_nc_u16 v61, v92, v112
	v_lshlrev_b32_e32 v112, 4, v165
	s_delay_alu instid0(VALU_DEP_2)
	v_and_b32_e32 v166, 0xffff, v61
	global_load_b128 v[150:153], v112, s[4:5] offset:320
	v_lshlrev_b32_e32 v61, 4, v166
	global_load_b128 v[154:157], v61, s[4:5] offset:320
	ds_load_2addr_b32 v[112:113], v31 offset0:70 offset1:205
	ds_load_2addr_b32 v[115:116], v32 offset0:12 offset1:147
	;; [unrolled: 1-line block ×4, first 2 shown]
	s_wait_loadcnt_dscnt 0x903
	v_mul_f32_e32 v61, v112, v105
	v_mul_f32_e32 v167, v18, v105
	s_wait_dscnt 0x2
	v_mul_f32_e32 v105, v115, v107
	s_wait_loadcnt 0x8
	v_mul_f32_e32 v114, v19, v109
	v_mul_f32_e32 v168, v14, v107
	v_fma_f32 v169, v18, v104, -v61
	v_mul_f32_e32 v18, v113, v109
	v_fma_f32 v170, v14, v106, -v105
	v_mul_f32_e32 v14, v116, v111
	v_fmac_f32_e32 v167, v112, v104
	v_mul_f32_e32 v105, v15, v111
	v_fma_f32 v117, v19, v108, -v18
	ds_load_2addr_b32 v[18:19], v35 offset0:98 offset1:233
	v_fma_f32 v133, v15, v110, -v14
	ds_load_2addr_b32 v[14:15], v41 offset0:40 offset1:175
	v_fmac_f32_e32 v168, v115, v106
	v_dual_fmac_f32 v114, v113, v108 :: v_dual_fmac_f32 v105, v116, v110
	s_wait_loadcnt_dscnt 0x703
	v_mul_f32_e32 v104, v131, v120
	s_wait_dscnt 0x2
	v_dual_mul_f32 v115, v16, v120 :: v_dual_mul_f32 v106, v158, v122
	s_wait_loadcnt 0x6
	v_mul_f32_e32 v107, v159, v126
	v_mul_f32_e32 v61, v12, v122
	v_fma_f32 v120, v16, v119, -v104
	v_dual_mul_f32 v16, v132, v124 :: v_dual_fmac_f32 v115, v131, v119
	v_mul_f32_e32 v104, v17, v124
	v_fma_f32 v131, v12, v121, -v106
	v_fma_f32 v108, v13, v125, -v107
	s_delay_alu instid0(VALU_DEP_4)
	v_fma_f32 v106, v17, v123, -v16
	ds_load_2addr_b32 v[16:17], v42 offset0:112 offset1:247
	v_mul_f32_e32 v112, v13, v126
	ds_load_2addr_b32 v[12:13], v43 offset0:54 offset1:189
	v_dual_fmac_f32 v61, v158, v121 :: v_dual_fmac_f32 v104, v132, v123
	s_wait_loadcnt_dscnt 0x503
	v_mul_f32_e32 v109, v18, v128
	s_wait_dscnt 0x2
	v_mul_f32_e32 v110, v14, v130
	v_mul_f32_e32 v107, v8, v130
	s_delay_alu instid0(VALU_DEP_3) | instskip(SKIP_4) | instid1(VALU_DEP_3)
	v_fma_f32 v124, v10, v127, -v109
	s_wait_loadcnt 0x4
	v_mul_f32_e32 v109, v11, v139
	v_mul_f32_e32 v119, v9, v141
	v_fmac_f32_e32 v107, v14, v129
	v_fmac_f32_e32 v109, v19, v138
	s_delay_alu instid0(VALU_DEP_3) | instskip(SKIP_4) | instid1(VALU_DEP_3)
	v_fmac_f32_e32 v119, v15, v140
	v_mul_f32_e32 v118, v10, v128
	v_mul_f32_e32 v10, v15, v141
	s_wait_loadcnt 0x3
	v_mul_f32_e32 v116, v6, v143
	v_fmac_f32_e32 v118, v18, v127
	v_fma_f32 v127, v8, v129, -v110
	v_mul_f32_e32 v110, v4, v145
	v_mul_f32_e32 v8, v19, v139
	s_wait_dscnt 0x1
	v_fmac_f32_e32 v116, v16, v142
	v_fma_f32 v128, v9, v140, -v10
	s_wait_dscnt 0x0
	v_fmac_f32_e32 v110, v12, v144
	v_fmac_f32_e32 v112, v159, v125
	ds_load_2addr_b32 v[158:159], v44 offset0:62 offset1:197
	v_fma_f32 v121, v11, v138, -v8
	ds_load_2addr_b32 v[8:9], v45 offset0:68 offset1:203
	v_mul_f32_e32 v11, v12, v145
	s_wait_loadcnt 0x2
	v_mul_f32_e32 v123, v5, v149
	v_mul_f32_e32 v129, v7, v147
	s_delay_alu instid0(VALU_DEP_3) | instskip(SKIP_1) | instid1(VALU_DEP_3)
	v_fma_f32 v125, v4, v144, -v11
	v_mul_f32_e32 v4, v17, v147
	v_fmac_f32_e32 v129, v17, v146
	s_wait_loadcnt 0x1
	v_mul_f32_e32 v113, v2, v151
	v_fmac_f32_e32 v123, v13, v148
	v_fma_f32 v132, v7, v146, -v4
	v_add_f32_e32 v7, v103, v169
	v_mul_u32_u24_e32 v46, 0xda75, v46
	s_wait_loadcnt 0x0
	v_mul_f32_e32 v126, v3, v155
	v_mul_f32_e32 v138, v1, v157
	s_wait_dscnt 0x1
	v_mul_f32_e32 v4, v158, v151
	v_fmac_f32_e32 v113, v158, v150
	v_lshrrev_b32_e32 v46, 22, v46
	s_wait_dscnt 0x0
	v_fmac_f32_e32 v138, v9, v156
	v_fma_f32 v111, v2, v150, -v4
	v_mul_f32_e32 v4, v8, v153
	v_mul_f32_e32 v2, v0, v153
	s_delay_alu instid0(VALU_DEP_2) | instskip(SKIP_1) | instid1(VALU_DEP_3)
	v_fma_f32 v130, v0, v152, -v4
	v_mul_f32_e32 v10, v16, v143
	v_fmac_f32_e32 v2, v8, v152
	v_mul_u32_u24_e32 v8, 0x258, v51
	s_delay_alu instid0(VALU_DEP_3) | instskip(SKIP_1) | instid1(VALU_DEP_1)
	v_fma_f32 v122, v6, v142, -v10
	v_mul_f32_e32 v6, v13, v149
	v_fma_f32 v134, v5, v148, -v6
	v_mul_f32_e32 v5, v159, v155
	ds_load_b32 v139, v38
	ds_load_b32 v140, v98
	;; [unrolled: 1-line block ×10, first 2 shown]
	v_mul_f32_e32 v4, v9, v157
	global_wb scope:SCOPE_SE
	s_wait_dscnt 0x0
	s_barrier_signal -1
	v_fma_f32 v0, v3, v154, -v5
	v_and_b32_e32 v3, 0xffff, v52
	v_add_f32_e32 v5, v169, v170
	v_lshlrev_b32_e32 v6, 2, v54
	v_fma_f32 v1, v1, v156, -v4
	v_add_f32_e32 v4, v7, v170
	v_mul_u32_u24_e32 v3, 0x258, v3
	v_fmac_f32_e32 v103, -0.5, v5
	v_sub_f32_e32 v5, v167, v168
	v_add_f32_e32 v7, v117, v133
	s_barrier_wait -1
	v_add3_u32 v3, 0, v3, v6
	global_inv scope:SCOPE_SE
	v_fmamk_f32 v6, v5, 0x3f5db3d7, v103
	v_fmac_f32_e32 v103, 0xbf5db3d7, v5
	v_add_f32_e32 v5, v102, v117
	v_dual_fmac_f32 v102, -0.5, v7 :: v_dual_lshlrev_b32 v9, 2, v56
	v_sub_f32_e32 v7, v114, v105
	ds_store_2addr_b32 v3, v4, v6 offset1:50
	ds_store_b32 v3, v103 offset:400
	v_dual_sub_f32 v117, v117, v133 :: v_dual_add_f32 v6, v120, v131
	v_add3_u32 v56, 0, v8, v9
	v_dual_add_f32 v4, v5, v133 :: v_dual_fmamk_f32 v5, v7, 0x3f5db3d7, v102
	v_dual_fmac_f32 v102, 0xbf5db3d7, v7 :: v_dual_add_f32 v7, v100, v120
	v_mul_u32_u24_e32 v8, 0x258, v55
	v_dual_fmac_f32 v100, -0.5, v6 :: v_dual_lshlrev_b32 v9, 2, v60
	v_sub_f32_e32 v6, v115, v61
	ds_store_2addr_b32 v56, v4, v5 offset1:50
	ds_store_b32 v56, v102 offset:400
	v_add_f32_e32 v4, v7, v131
	v_add3_u32 v60, 0, v8, v9
	v_add_f32_e32 v7, v106, v108
	v_fmamk_f32 v5, v6, 0x3f5db3d7, v100
	v_fmac_f32_e32 v100, 0xbf5db3d7, v6
	v_add_f32_e32 v6, v101, v106
	v_mul_u32_u24_e32 v8, 0x258, v53
	v_lshlrev_b32_e32 v9, 2, v58
	v_fmac_f32_e32 v101, -0.5, v7
	v_sub_f32_e32 v7, v104, v112
	ds_store_2addr_b32 v60, v4, v5 offset1:50
	ds_store_b32 v60, v100 offset:400
	v_add_f32_e32 v4, v6, v108
	v_add_f32_e32 v6, v124, v127
	v_add3_u32 v58, 0, v8, v9
	v_fmamk_f32 v5, v7, 0x3f5db3d7, v101
	v_fmac_f32_e32 v101, 0xbf5db3d7, v7
	v_add_f32_e32 v7, v99, v124
	v_dual_fmac_f32 v99, -0.5, v6 :: v_dual_sub_f32 v6, v118, v107
	v_mul_u32_u24_e32 v8, 0x258, v57
	v_lshlrev_b32_e32 v9, 2, v137
	ds_store_2addr_b32 v58, v4, v5 offset1:50
	ds_store_b32 v58, v101 offset:400
	v_dual_add_f32 v4, v7, v127 :: v_dual_fmamk_f32 v5, v6, 0x3f5db3d7, v99
	v_dual_fmac_f32 v99, 0xbf5db3d7, v6 :: v_dual_add_f32 v6, v121, v128
	v_add3_u32 v57, 0, v8, v9
	v_mul_u32_u24_e32 v7, 0x258, v59
	v_lshlrev_b32_e32 v8, 2, v161
	s_delay_alu instid0(VALU_DEP_4)
	v_dual_add_f32 v9, v28, v121 :: v_dual_fmac_f32 v28, -0.5, v6
	v_add_f32_e32 v6, v122, v125
	ds_store_2addr_b32 v57, v4, v5 offset1:50
	v_add3_u32 v59, 0, v7, v8
	v_mul_u32_u24_e32 v7, 0x258, v160
	v_lshlrev_b32_e32 v8, 2, v163
	v_add_f32_e32 v4, v9, v128
	v_sub_f32_e32 v5, v109, v119
	v_add_f32_e32 v9, v47, v122
	v_fmac_f32_e32 v47, -0.5, v6
	v_add_f32_e32 v6, v132, v134
	ds_store_b32 v57, v99 offset:400
	v_add3_u32 v99, 0, v7, v8
	v_dual_sub_f32 v7, v116, v110 :: v_dual_fmamk_f32 v10, v5, 0x3f5db3d7, v28
	v_fmac_f32_e32 v28, 0xbf5db3d7, v5
	v_add_f32_e32 v5, v9, v125
	v_add_f32_e32 v8, v25, v132
	v_mul_u32_u24_e32 v9, 0x258, v135
	v_lshlrev_b32_e32 v11, 2, v164
	v_dual_fmac_f32 v25, -0.5, v6 :: v_dual_sub_f32 v6, v129, v123
	v_fmamk_f32 v12, v7, 0x3f5db3d7, v47
	v_fmac_f32_e32 v47, 0xbf5db3d7, v7
	s_delay_alu instid0(VALU_DEP_4) | instskip(NEXT) | instid1(VALU_DEP_4)
	v_add3_u32 v100, 0, v9, v11
	v_dual_add_f32 v7, v8, v134 :: v_dual_fmamk_f32 v8, v6, 0x3f5db3d7, v25
	ds_store_2addr_b32 v59, v4, v10 offset1:50
	ds_store_b32 v59, v28 offset:400
	ds_store_2addr_b32 v99, v5, v12 offset1:50
	ds_store_b32 v99, v47 offset:400
	ds_store_2addr_b32 v100, v7, v8 offset1:50
	v_fmac_f32_e32 v25, 0xbf5db3d7, v6
	v_mul_u32_u24_e32 v5, 0x258, v162
	v_lshlrev_b32_e32 v6, 2, v165
	v_dual_add_f32 v8, v23, v0 :: v_dual_add_f32 v7, v24, v111
	v_mul_u32_u24_e32 v48, 0xda75, v48
	ds_store_b32 v100, v25 offset:400
	v_add3_u32 v101, 0, v5, v6
	v_add_f32_e32 v6, v0, v1
	v_sub_f32_e32 v0, v0, v1
	v_add_f32_e32 v4, v111, v130
	v_add_f32_e32 v5, v7, v130
	v_lshrrev_b32_e32 v48, 22, v48
	v_sub_f32_e32 v135, v169, v170
	v_mul_u32_u24_e32 v9, 0x258, v136
	v_fmac_f32_e32 v24, -0.5, v4
	v_sub_f32_e32 v4, v113, v2
	v_mul_lo_u16 v48, 0x96, v48
	v_lshlrev_b32_e32 v10, 2, v166
	v_dual_fmac_f32 v23, -0.5, v6 :: v_dual_add_f32 v136, v114, v105
	s_delay_alu instid0(VALU_DEP_4)
	v_fmamk_f32 v7, v4, 0x3f5db3d7, v24
	v_fmac_f32_e32 v24, 0xbf5db3d7, v4
	v_add_f32_e32 v4, v8, v1
	v_add_f32_e32 v8, v167, v168
	v_sub_nc_u16 v48, v92, v48
	ds_store_2addr_b32 v101, v5, v7 offset1:50
	v_add_f32_e32 v7, v139, v167
	v_add3_u32 v102, 0, v9, v10
	v_dual_fmac_f32 v139, -0.5, v8 :: v_dual_fmac_f32 v126, v159, v154
	s_delay_alu instid0(VALU_DEP_3) | instskip(SKIP_1) | instid1(VALU_DEP_3)
	v_dual_add_f32 v114, v140, v114 :: v_dual_add_f32 v103, v7, v168
	v_and_b32_e32 v162, 0xffff, v48
	v_fmamk_f32 v137, v135, 0xbf5db3d7, v139
	s_delay_alu instid0(VALU_DEP_4)
	v_dual_fmac_f32 v139, 0x3f5db3d7, v135 :: v_dual_sub_f32 v6, v126, v138
	v_fmac_f32_e32 v140, -0.5, v136
	ds_store_b32 v101, v24 offset:400
	v_mul_u32_u24_e32 v22, 0xda75, v22
	v_mov_b32_e32 v1, 0
	v_fmamk_f32 v5, v6, 0x3f5db3d7, v23
	v_fmac_f32_e32 v23, 0xbf5db3d7, v6
	v_mul_u32_u24_e32 v26, 0xda75, v26
	v_mul_u32_u24_e32 v50, 0xda75, v50
	v_lshrrev_b32_e32 v159, 22, v49
	ds_store_2addr_b32 v102, v4, v5 offset1:50
	ds_store_b32 v102, v23 offset:400
	global_wb scope:SCOPE_SE
	s_wait_dscnt 0x0
	s_barrier_signal -1
	s_barrier_wait -1
	global_inv scope:SCOPE_SE
	ds_load_b32 v55, v38
	ds_load_b32 v54, v98
	ds_load_b32 v53, v97
	ds_load_b32 v28, v96
	ds_load_b32 v25, v37
	ds_load_b32 v24, v39
	ds_load_b32 v23, v40
	ds_load_b32 v51, v95
	ds_load_b32 v52, v94
	ds_load_b32 v47, v93
	ds_load_2addr_b32 v[150:151], v31 offset0:70 offset1:205
	ds_load_2addr_b32 v[152:153], v32 offset0:12 offset1:147
	;; [unrolled: 1-line block ×10, first 2 shown]
	global_wb scope:SCOPE_SE
	s_wait_dscnt 0x0
	s_barrier_signal -1
	s_barrier_wait -1
	global_inv scope:SCOPE_SE
	ds_store_2addr_b32 v3, v103, v137 offset1:50
	ds_store_b32 v3, v139 offset:400
	v_add_f32_e32 v3, v115, v61
	v_add_f32_e32 v103, v114, v105
	v_fmamk_f32 v105, v117, 0xbf5db3d7, v140
	v_fmac_f32_e32 v140, 0x3f5db3d7, v117
	v_add_f32_e32 v114, v141, v115
	v_fmac_f32_e32 v141, -0.5, v3
	v_sub_f32_e32 v3, v120, v131
	ds_store_2addr_b32 v56, v103, v105 offset1:50
	ds_store_b32 v56, v140 offset:400
	v_dual_add_f32 v56, v104, v112 :: v_dual_add_f32 v61, v114, v61
	v_lshrrev_b32_e32 v155, 22, v26
	v_fmamk_f32 v103, v3, 0xbf5db3d7, v141
	v_fmac_f32_e32 v141, 0x3f5db3d7, v3
	v_add_f32_e32 v3, v147, v104
	v_fmac_f32_e32 v147, -0.5, v56
	v_sub_f32_e32 v56, v106, v108
	ds_store_2addr_b32 v60, v61, v103 offset1:50
	v_add_f32_e32 v61, v118, v107
	ds_store_b32 v60, v141 offset:400
	v_dual_add_f32 v3, v3, v112 :: v_dual_fmamk_f32 v60, v56, 0xbf5db3d7, v147
	v_dual_add_f32 v103, v146, v118 :: v_dual_fmac_f32 v146, -0.5, v61
	v_sub_f32_e32 v61, v124, v127
	v_fmac_f32_e32 v147, 0x3f5db3d7, v56
	ds_store_2addr_b32 v58, v3, v60 offset1:50
	v_add_f32_e32 v3, v109, v119
	v_add_f32_e32 v56, v103, v107
	v_fmamk_f32 v60, v61, 0xbf5db3d7, v146
	ds_store_b32 v58, v147 offset:400
	v_add_f32_e32 v58, v142, v109
	v_dual_fmac_f32 v142, -0.5, v3 :: v_dual_sub_f32 v3, v121, v128
	ds_store_2addr_b32 v57, v56, v60 offset1:50
	v_fmac_f32_e32 v146, 0x3f5db3d7, v61
	v_add_f32_e32 v56, v58, v119
	v_add_f32_e32 v58, v116, v110
	v_fmamk_f32 v60, v3, 0xbf5db3d7, v142
	v_fmac_f32_e32 v142, 0x3f5db3d7, v3
	v_add_f32_e32 v3, v129, v123
	s_delay_alu instid0(VALU_DEP_4) | instskip(SKIP_2) | instid1(VALU_DEP_4)
	v_dual_add_f32 v61, v148, v116 :: v_dual_fmac_f32 v148, -0.5, v58
	v_sub_f32_e32 v58, v122, v125
	v_add_f32_e32 v103, v143, v129
	v_fmac_f32_e32 v143, -0.5, v3
	v_sub_f32_e32 v3, v132, v134
	v_add_f32_e32 v106, v144, v113
	v_fmamk_f32 v104, v58, 0xbf5db3d7, v148
	v_fmac_f32_e32 v148, 0x3f5db3d7, v58
	v_dual_add_f32 v58, v103, v123 :: v_dual_add_f32 v103, v113, v2
	v_fmamk_f32 v105, v3, 0xbf5db3d7, v143
	v_fmac_f32_e32 v143, 0x3f5db3d7, v3
	v_add_f32_e32 v3, v126, v138
	s_delay_alu instid0(VALU_DEP_4) | instskip(SKIP_2) | instid1(VALU_DEP_4)
	v_dual_add_f32 v107, v145, v126 :: v_dual_fmac_f32 v144, -0.5, v103
	v_sub_f32_e32 v103, v111, v130
	v_add_f32_e32 v61, v61, v110
	v_dual_fmac_f32 v145, -0.5, v3 :: v_dual_add_f32 v106, v106, v2
	ds_store_b32 v57, v146 offset:400
	ds_store_2addr_b32 v59, v56, v60 offset1:50
	ds_store_b32 v59, v142 offset:400
	v_fmamk_f32 v108, v103, 0xbf5db3d7, v144
	v_dual_fmac_f32 v144, 0x3f5db3d7, v103 :: v_dual_add_f32 v103, v107, v138
	v_dual_fmamk_f32 v107, v0, 0xbf5db3d7, v145 :: v_dual_add_nc_u32 v56, -15, v78
	v_fmac_f32_e32 v145, 0x3f5db3d7, v0
	ds_store_2addr_b32 v99, v61, v104 offset1:50
	ds_store_b32 v99, v148 offset:400
	ds_store_2addr_b32 v100, v58, v105 offset1:50
	ds_store_b32 v100, v143 offset:400
	ds_store_2addr_b32 v101, v106, v108 offset1:50
	ds_store_b32 v101, v144 offset:400
	ds_store_2addr_b32 v102, v103, v107 offset1:50
	ds_store_b32 v102, v145 offset:400
	v_mul_lo_u16 v101, 0x96, v46
	v_lshlrev_b32_e32 v0, 1, v78
	s_wait_alu 0xf1ff
	v_cndmask_b32_e64 v56, v56, v85, s0
	v_lshrrev_b32_e32 v57, 22, v22
	v_mov_b32_e32 v59, v1
	v_sub_nc_u16 v22, v84, v101
	v_lshlrev_b64_e32 v[2:3], 3, v[0:1]
	v_lshlrev_b32_e32 v58, 1, v56
	v_mul_lo_u16 v101, 0x96, v57
	global_wb scope:SCOPE_SE
	s_wait_dscnt 0x0
	v_and_b32_e32 v154, 0xffff, v22
	v_lshrrev_b32_e32 v22, 22, v27
	v_lshlrev_b64_e32 v[99:100], 3, v[58:59]
	v_add_co_u32 v2, s0, s4, v2
	s_wait_alu 0xf1ff
	v_add_co_ci_u32_e64 v3, s0, s5, v3, s0
	v_sub_nc_u16 v27, v86, v101
	v_mul_lo_u16 v107, 0x96, v22
	v_add_co_u32 v99, s0, s4, v99
	s_barrier_signal -1
	s_barrier_wait -1
	global_inv scope:SCOPE_SE
	global_load_b128 v[58:61], v[2:3], off offset:1120
	s_wait_alu 0xf1ff
	v_add_co_ci_u32_e64 v100, s0, s5, v100, s0
	v_and_b32_e32 v27, 0xffff, v27
	v_sub_nc_u16 v26, v87, v107
	v_lshlrev_b32_e32 v103, 4, v154
	global_load_b128 v[99:102], v[99:100], off offset:1120
	v_mul_lo_u16 v108, 0x96, v155
	v_lshlrev_b32_e32 v107, 4, v27
	v_and_b32_e32 v156, 0xffff, v26
	v_lshrrev_b32_e32 v26, 22, v50
	global_load_b128 v[103:106], v103, s[4:5] offset:1120
	v_sub_nc_u16 v50, v88, v108
	global_load_b128 v[118:121], v107, s[4:5] offset:1120
	v_lshlrev_b32_e32 v107, 4, v156
	v_mul_lo_u16 v108, 0x96, v26
	v_cmp_lt_u32_e64 s0, 14, v78
	v_and_b32_e32 v157, 0xffff, v50
	global_load_b128 v[126:129], v107, s[4:5] offset:1120
	v_sub_nc_u16 v50, v89, v108
	v_lshlrev_b32_e32 v107, 4, v157
	s_delay_alu instid0(VALU_DEP_2)
	v_and_b32_e32 v158, 0xffff, v50
	v_mul_lo_u16 v50, 0x96, v29
	global_load_b128 v[130:133], v107, s[4:5] offset:1120
	v_lshlrev_b32_e32 v107, 4, v158
	v_sub_nc_u16 v49, v90, v50
	v_mul_lo_u16 v50, 0x96, v159
	global_load_b128 v[134:137], v107, s[4:5] offset:1120
	v_and_b32_e32 v160, 0xffff, v49
	v_sub_nc_u16 v49, v91, v50
	s_delay_alu instid0(VALU_DEP_2) | instskip(NEXT) | instid1(VALU_DEP_2)
	v_lshlrev_b32_e32 v50, 4, v160
	v_and_b32_e32 v161, 0xffff, v49
	v_lshlrev_b32_e32 v49, 4, v162
	global_load_b128 v[138:141], v50, s[4:5] offset:1120
	v_lshlrev_b32_e32 v48, 4, v161
	s_clause 0x1
	global_load_b128 v[142:145], v48, s[4:5] offset:1120
	global_load_b128 v[146:149], v49, s[4:5] offset:1120
	ds_load_2addr_b32 v[48:49], v31 offset0:70 offset1:205
	ds_load_2addr_b32 v[107:108], v32 offset0:12 offset1:147
	;; [unrolled: 1-line block ×4, first 2 shown]
	s_wait_loadcnt_dscnt 0x903
	v_mul_f32_e32 v50, v48, v59
	v_mul_f32_e32 v163, v150, v59
	s_wait_dscnt 0x2
	v_mul_f32_e32 v59, v107, v61
	v_mul_f32_e32 v164, v152, v61
	v_fma_f32 v150, v150, v58, -v50
	s_wait_loadcnt 0x8
	v_mul_f32_e32 v50, v108, v102
	v_fma_f32 v152, v152, v60, -v59
	v_dual_mul_f32 v125, v153, v102 :: v_dual_fmac_f32 v164, v107, v60
	ds_load_2addr_b32 v[60:61], v35 offset0:98 offset1:233
	v_fma_f32 v153, v153, v101, -v50
	s_wait_loadcnt_dscnt 0x602
	v_dual_mul_f32 v50, v110, v104 :: v_dual_mul_f32 v59, v111, v119
	v_mul_f32_e32 v109, v18, v104
	v_mul_f32_e32 v119, v19, v119
	v_fmac_f32_e32 v163, v48, v58
	s_delay_alu instid0(VALU_DEP_4)
	v_fma_f32 v113, v18, v103, -v50
	v_fma_f32 v116, v19, v118, -v59
	ds_load_2addr_b32 v[18:19], v42 offset0:112 offset1:247
	s_wait_dscnt 0x2
	v_mul_f32_e32 v58, v114, v106
	v_dual_mul_f32 v102, v16, v106 :: v_dual_fmac_f32 v109, v110, v103
	v_mul_f32_e32 v165, v151, v100
	v_fmac_f32_e32 v119, v111, v118
	s_delay_alu instid0(VALU_DEP_4)
	v_fma_f32 v117, v16, v105, -v58
	v_mul_f32_e32 v16, v115, v121
	s_wait_loadcnt 0x4
	v_dual_fmac_f32 v102, v114, v105 :: v_dual_mul_f32 v105, v15, v131
	v_fmac_f32_e32 v165, v49, v99
	v_fmac_f32_e32 v125, v108, v101
	v_fma_f32 v123, v17, v120, -v16
	s_wait_dscnt 0x1
	v_dual_mul_f32 v50, v60, v127 :: v_dual_fmac_f32 v105, v61, v130
	v_mul_f32_e32 v103, v14, v127
	s_wait_loadcnt 0x3
	v_dual_mul_f32 v58, v10, v135 :: v_dual_mul_f32 v107, v13, v133
	s_delay_alu instid0(VALU_DEP_3) | instskip(NEXT) | instid1(VALU_DEP_3)
	v_fma_f32 v59, v14, v126, -v50
	v_fmac_f32_e32 v103, v60, v126
	s_wait_dscnt 0x0
	s_delay_alu instid0(VALU_DEP_3) | instskip(SKIP_1) | instid1(VALU_DEP_1)
	v_fmac_f32_e32 v58, v18, v134
	v_mul_f32_e32 v16, v61, v131
	v_fma_f32 v110, v15, v130, -v16
	v_mul_f32_e32 v114, v17, v121
	ds_load_2addr_b32 v[16:17], v45 offset0:68 offset1:203
	v_fmac_f32_e32 v114, v115, v120
	v_mul_f32_e32 v48, v49, v100
	ds_load_2addr_b32 v[100:101], v43 offset0:54 offset1:189
	s_wait_loadcnt 0x0
	v_mul_f32_e32 v106, v7, v147
	v_fma_f32 v151, v151, v99, -v48
	ds_load_2addr_b32 v[48:49], v41 offset0:40 offset1:175
	v_mul_f32_e32 v99, v9, v141
	s_wait_dscnt 0x1
	s_delay_alu instid0(VALU_DEP_1) | instskip(SKIP_2) | instid1(VALU_DEP_2)
	v_dual_mul_f32 v60, v100, v137 :: v_dual_fmac_f32 v99, v101, v140
	s_wait_dscnt 0x0
	v_mul_f32_e32 v14, v48, v129
	v_fma_f32 v104, v8, v136, -v60
	v_mul_f32_e32 v50, v12, v129
	v_mul_f32_e32 v60, v8, v137
	;; [unrolled: 1-line block ×3, first 2 shown]
	v_fma_f32 v111, v12, v128, -v14
	ds_load_2addr_b32 v[14:15], v44 offset0:62 offset1:197
	v_fmac_f32_e32 v50, v48, v128
	v_mul_f32_e32 v48, v18, v135
	v_mul_f32_e32 v12, v49, v133
	v_fmac_f32_e32 v60, v100, v136
	v_sub_f32_e32 v133, v150, v152
	v_fma_f32 v112, v11, v138, -v8
	v_fma_f32 v61, v10, v134, -v48
	v_mul_f32_e32 v10, v101, v141
	v_dual_mul_f32 v48, v4, v145 :: v_dual_fmac_f32 v107, v49, v132
	v_dual_mul_f32 v49, v6, v143 :: v_dual_add_f32 v134, v165, v125
	s_delay_alu instid0(VALU_DEP_3) | instskip(SKIP_1) | instid1(VALU_DEP_1)
	v_fma_f32 v115, v9, v140, -v10
	v_mul_f32_e32 v9, v16, v145
	v_fma_f32 v101, v4, v144, -v9
	s_wait_dscnt 0x0
	v_mul_f32_e32 v10, v15, v147
	v_mul_f32_e32 v4, v17, v149
	v_dual_mul_f32 v8, v14, v143 :: v_dual_add_f32 v9, v55, v150
	v_mul_f32_e32 v108, v11, v139
	s_delay_alu instid0(VALU_DEP_4)
	v_fma_f32 v100, v7, v146, -v10
	v_mul_f32_e32 v7, v5, v149
	v_fma_f32 v122, v5, v148, -v4
	ds_load_b32 v127, v38
	ds_load_b32 v128, v98
	;; [unrolled: 1-line block ×10, first 2 shown]
	v_fma_f32 v6, v6, v142, -v8
	v_dual_add_f32 v8, v150, v152 :: v_dual_add_f32 v11, v151, v153
	global_wb scope:SCOPE_SE
	s_wait_dscnt 0x0
	s_barrier_signal -1
	s_barrier_wait -1
	v_fmac_f32_e32 v55, -0.5, v8
	global_inv scope:SCOPE_SE
	v_dual_fmac_f32 v108, v19, v138 :: v_dual_fmac_f32 v7, v17, v148
	v_fmac_f32_e32 v49, v14, v142
	v_dual_add_f32 v135, v128, v165 :: v_dual_add_f32 v8, v9, v152
	v_sub_f32_e32 v9, v163, v164
	v_fmac_f32_e32 v106, v15, v146
	v_fmac_f32_e32 v48, v16, v144
	v_fmac_f32_e32 v128, -0.5, v134
	v_sub_f32_e32 v134, v151, v153
	v_fmamk_f32 v10, v9, 0x3f5db3d7, v55
	v_fmac_f32_e32 v55, 0xbf5db3d7, v9
	v_add_f32_e32 v9, v54, v151
	v_dual_fmac_f32 v54, -0.5, v11 :: v_dual_sub_f32 v11, v165, v125
	v_add_f32_e32 v125, v135, v125
	ds_store_2addr_b32 v38, v8, v10 offset1:150
	ds_store_b32 v38, v55 offset:1200
	v_add_f32_e32 v10, v113, v117
	v_dual_add_f32 v8, v9, v153 :: v_dual_fmamk_f32 v9, v11, 0x3f5db3d7, v54
	v_dual_fmac_f32 v54, 0xbf5db3d7, v11 :: v_dual_add_f32 v11, v53, v113
	s_delay_alu instid0(VALU_DEP_3)
	v_fmac_f32_e32 v53, -0.5, v10
	v_lshlrev_b32_e32 v15, 2, v160
	v_fma_f32 v121, v13, v132, -v12
	v_lshlrev_b32_e32 v12, 2, v56
	s_wait_alu 0xf1ff
	v_cndmask_b32_e64 v13, 0, 0x708, s0
	v_sub_f32_e32 v10, v109, v102
	v_sub_f32_e32 v113, v113, v117
	v_cmp_gt_u32_e64 s0, 45, v78
	s_delay_alu instid0(VALU_DEP_4)
	v_add3_u32 v55, 0, v13, v12
	v_mul_u32_u24_e32 v12, 0x708, v46
	v_lshlrev_b32_e32 v13, 2, v154
	ds_store_2addr_b32 v55, v8, v9 offset1:150
	ds_store_b32 v55, v54 offset:1200
	v_add_f32_e32 v8, v11, v117
	v_add3_u32 v46, 0, v12, v13
	v_fmamk_f32 v9, v10, 0x3f5db3d7, v53
	v_add_f32_e32 v11, v116, v123
	v_dual_fmac_f32 v53, 0xbf5db3d7, v10 :: v_dual_add_f32 v10, v52, v116
	v_mul_u32_u24_e32 v12, 0x708, v57
	v_lshlrev_b32_e32 v13, 2, v27
	s_delay_alu instid0(VALU_DEP_4)
	v_dual_fmac_f32 v52, -0.5, v11 :: v_dual_sub_f32 v11, v119, v114
	ds_store_2addr_b32 v46, v8, v9 offset1:150
	ds_store_b32 v46, v53 offset:1200
	v_add_f32_e32 v8, v10, v123
	v_add_f32_e32 v10, v59, v111
	v_lshl_add_u32 v57, v162, 2, 0
	v_add3_u32 v53, 0, v12, v13
	v_fmamk_f32 v9, v11, 0x3f5db3d7, v52
	v_mul_u32_u24_e32 v12, 0x708, v22
	v_lshlrev_b32_e32 v13, 2, v156
	v_add_nc_u32_e32 v131, 0x3800, v57
	v_fmac_f32_e32 v52, 0xbf5db3d7, v11
	v_add_f32_e32 v11, v51, v59
	v_fmac_f32_e32 v51, -0.5, v10
	v_sub_f32_e32 v10, v103, v50
	ds_store_2addr_b32 v53, v8, v9 offset1:150
	ds_store_b32 v53, v52 offset:1200
	v_add3_u32 v52, 0, v12, v13
	v_add_f32_e32 v8, v11, v111
	v_mul_u32_u24_e32 v11, 0x708, v155
	v_fmamk_f32 v9, v10, 0x3f5db3d7, v51
	v_dual_fmac_f32 v51, 0xbf5db3d7, v10 :: v_dual_add_f32 v10, v110, v121
	v_dual_add_f32 v13, v28, v110 :: v_dual_lshlrev_b32 v12, 2, v157
	ds_store_2addr_b32 v52, v8, v9 offset1:150
	ds_store_b32 v52, v51 offset:1200
	v_fmac_f32_e32 v28, -0.5, v10
	v_add_f32_e32 v10, v61, v104
	v_add3_u32 v51, 0, v11, v12
	v_mul_u32_u24_e32 v11, 0x708, v26
	v_lshlrev_b32_e32 v12, 2, v158
	v_add_f32_e32 v8, v13, v121
	v_sub_f32_e32 v9, v105, v107
	v_add_f32_e32 v13, v47, v61
	v_dual_fmac_f32 v47, -0.5, v10 :: v_dual_add_f32 v10, v112, v115
	v_add3_u32 v54, 0, v11, v12
	s_delay_alu instid0(VALU_DEP_4) | instskip(NEXT) | instid1(VALU_DEP_4)
	v_dual_sub_f32 v11, v58, v60 :: v_dual_fmamk_f32 v14, v9, 0x3f5db3d7, v28
	v_dual_fmac_f32 v28, 0xbf5db3d7, v9 :: v_dual_add_f32 v9, v13, v104
	v_add_f32_e32 v12, v25, v112
	v_mul_u32_u24_e32 v13, 0x708, v29
	v_dual_fmac_f32 v25, -0.5, v10 :: v_dual_sub_f32 v10, v108, v99
	v_fmamk_f32 v16, v11, 0x3f5db3d7, v47
	v_fmac_f32_e32 v47, 0xbf5db3d7, v11
	s_delay_alu instid0(VALU_DEP_4) | instskip(NEXT) | instid1(VALU_DEP_4)
	v_add3_u32 v56, 0, v13, v15
	v_dual_add_f32 v11, v12, v115 :: v_dual_fmamk_f32 v12, v10, 0x3f5db3d7, v25
	ds_store_2addr_b32 v51, v8, v14 offset1:150
	ds_store_b32 v51, v28 offset:1200
	ds_store_2addr_b32 v54, v9, v16 offset1:150
	ds_store_b32 v54, v47 offset:1200
	ds_store_2addr_b32 v56, v11, v12 offset1:150
	v_dual_add_f32 v8, v6, v101 :: v_dual_fmac_f32 v25, 0xbf5db3d7, v10
	v_mul_u32_u24_e32 v10, 0x708, v159
	v_lshlrev_b32_e32 v11, 2, v161
	v_dual_add_f32 v9, v24, v6 :: v_dual_sub_f32 v6, v6, v101
	s_delay_alu instid0(VALU_DEP_4) | instskip(SKIP_1) | instid1(VALU_DEP_4)
	v_fmac_f32_e32 v24, -0.5, v8
	v_sub_f32_e32 v8, v49, v48
	v_add3_u32 v47, 0, v10, v11
	v_dual_add_f32 v11, v23, v100 :: v_dual_add_f32 v12, v100, v122
	s_delay_alu instid0(VALU_DEP_3) | instskip(SKIP_1) | instid1(VALU_DEP_3)
	v_dual_add_f32 v9, v9, v101 :: v_dual_fmamk_f32 v10, v8, 0x3f5db3d7, v24
	v_fmac_f32_e32 v24, 0xbf5db3d7, v8
	v_add_f32_e32 v8, v11, v122
	v_add_f32_e32 v11, v163, v164
	ds_store_b32 v56, v25 offset:1200
	v_dual_fmac_f32 v23, -0.5, v12 :: v_dual_sub_f32 v12, v106, v7
	ds_store_2addr_b32 v47, v9, v10 offset1:150
	v_add_f32_e32 v10, v127, v163
	v_fmac_f32_e32 v127, -0.5, v11
	ds_store_b32 v47, v24 offset:1200
	v_fmamk_f32 v9, v12, 0x3f5db3d7, v23
	v_fmac_f32_e32 v23, 0xbf5db3d7, v12
	v_add_f32_e32 v132, v10, v164
	v_fmamk_f32 v136, v133, 0xbf5db3d7, v127
	v_fmac_f32_e32 v127, 0x3f5db3d7, v133
	v_fmamk_f32 v133, v134, 0xbf5db3d7, v128
	v_fmac_f32_e32 v128, 0x3f5db3d7, v134
	ds_store_2addr_b32 v131, v8, v9 offset0:16 offset1:166
	ds_store_b32 v57, v23 offset:15600
	global_wb scope:SCOPE_SE
	s_wait_dscnt 0x0
	s_barrier_signal -1
	s_barrier_wait -1
	global_inv scope:SCOPE_SE
	ds_load_b32 v29, v38
	ds_load_b32 v28, v98
	;; [unrolled: 1-line block ×10, first 2 shown]
	ds_load_2addr_b32 v[137:138], v31 offset0:70 offset1:205
	ds_load_2addr_b32 v[139:140], v32 offset0:12 offset1:147
	;; [unrolled: 1-line block ×10, first 2 shown]
	global_wb scope:SCOPE_SE
	s_wait_dscnt 0x0
	s_barrier_signal -1
	s_barrier_wait -1
	global_inv scope:SCOPE_SE
	ds_store_2addr_b32 v38, v132, v136 offset1:150
	ds_store_b32 v38, v127 offset:1200
	v_add_f32_e32 v127, v109, v102
	ds_store_2addr_b32 v55, v125, v133 offset1:150
	ds_store_b32 v55, v128 offset:1200
	v_add_f32_e32 v55, v119, v114
	v_add_f32_e32 v109, v129, v109
	;; [unrolled: 1-line block ×3, first 2 shown]
	v_fmac_f32_e32 v129, -0.5, v127
	s_delay_alu instid0(VALU_DEP_4) | instskip(NEXT) | instid1(VALU_DEP_4)
	v_fmac_f32_e32 v130, -0.5, v55
	v_dual_sub_f32 v55, v116, v123 :: v_dual_add_f32 v102, v109, v102
	s_delay_alu instid0(VALU_DEP_3) | instskip(SKIP_1) | instid1(VALU_DEP_3)
	v_fmamk_f32 v109, v113, 0xbf5db3d7, v129
	v_fmac_f32_e32 v129, 0x3f5db3d7, v113
	v_dual_add_f32 v113, v117, v114 :: v_dual_fmamk_f32 v114, v55, 0xbf5db3d7, v130
	v_fmac_f32_e32 v130, 0x3f5db3d7, v55
	ds_store_2addr_b32 v46, v102, v109 offset1:150
	ds_store_b32 v46, v129 offset:1200
	v_add_f32_e32 v46, v103, v50
	ds_store_2addr_b32 v53, v113, v114 offset1:150
	ds_store_b32 v53, v130 offset:1200
	v_add_f32_e32 v53, v105, v107
	v_dual_add_f32 v55, v126, v103 :: v_dual_fmac_f32 v126, -0.5, v46
	v_dual_sub_f32 v46, v59, v111 :: v_dual_add_f32 v59, v120, v105
	s_delay_alu instid0(VALU_DEP_3) | instskip(NEXT) | instid1(VALU_DEP_3)
	v_fmac_f32_e32 v120, -0.5, v53
	v_dual_sub_f32 v53, v110, v121 :: v_dual_add_f32 v50, v55, v50
	s_delay_alu instid0(VALU_DEP_3) | instskip(SKIP_2) | instid1(VALU_DEP_4)
	v_fmamk_f32 v55, v46, 0xbf5db3d7, v126
	v_fmac_f32_e32 v126, 0x3f5db3d7, v46
	v_dual_add_f32 v46, v59, v107 :: v_dual_add_f32 v59, v58, v60
	v_fmamk_f32 v102, v53, 0xbf5db3d7, v120
	v_dual_fmac_f32 v120, 0x3f5db3d7, v53 :: v_dual_add_f32 v53, v108, v99
	v_add_f32_e32 v58, v124, v58
	s_delay_alu instid0(VALU_DEP_4) | instskip(NEXT) | instid1(VALU_DEP_3)
	v_dual_fmac_f32 v124, -0.5, v59 :: v_dual_sub_f32 v59, v61, v104
	v_dual_add_f32 v61, v118, v108 :: v_dual_fmac_f32 v118, -0.5, v53
	s_delay_alu instid0(VALU_DEP_3) | instskip(NEXT) | instid1(VALU_DEP_3)
	v_dual_sub_f32 v53, v112, v115 :: v_dual_add_f32 v58, v58, v60
	v_fmamk_f32 v60, v59, 0xbf5db3d7, v124
	v_fmac_f32_e32 v124, 0x3f5db3d7, v59
	s_delay_alu instid0(VALU_DEP_4) | instskip(SKIP_4) | instid1(VALU_DEP_4)
	v_add_f32_e32 v59, v61, v99
	v_add_f32_e32 v61, v49, v48
	v_fmamk_f32 v99, v53, 0xbf5db3d7, v118
	v_dual_fmac_f32 v118, 0x3f5db3d7, v53 :: v_dual_add_f32 v53, v106, v7
	v_add_f32_e32 v49, v5, v49
	v_fmac_f32_e32 v5, -0.5, v61
	v_add_f32_e32 v61, v4, v106
	s_delay_alu instid0(VALU_DEP_4) | instskip(NEXT) | instid1(VALU_DEP_4)
	v_dual_fmac_f32 v4, -0.5, v53 :: v_dual_and_b32 v105, 0xffff, v90
	v_dual_sub_f32 v53, v100, v122 :: v_dual_add_f32 v48, v49, v48
	s_delay_alu instid0(VALU_DEP_4)
	v_fmamk_f32 v49, v6, 0xbf5db3d7, v5
	v_fmac_f32_e32 v5, 0x3f5db3d7, v6
	v_dual_add_f32 v61, v61, v7 :: v_dual_lshlrev_b32 v6, 1, v85
	v_mov_b32_e32 v7, v1
	v_fmamk_f32 v100, v53, 0xbf5db3d7, v4
	v_fmac_f32_e32 v4, 0x3f5db3d7, v53
	ds_store_2addr_b32 v52, v50, v55 offset1:150
	ds_store_b32 v52, v126 offset:1200
	ds_store_2addr_b32 v51, v46, v102 offset1:150
	ds_store_b32 v51, v120 offset:1200
	;; [unrolled: 2-line block ×4, first 2 shown]
	ds_store_2addr_b32 v47, v48, v49 offset1:150
	v_subrev_nc_u32_e32 v46, 45, v78
	ds_store_b32 v47, v5 offset:1200
	ds_store_2addr_b32 v131, v61, v100 offset0:16 offset1:166
	ds_store_b32 v57, v4 offset:15600
	v_lshlrev_b64_e32 v[4:5], 3, v[6:7]
	v_dual_mov_b32 v48, v1 :: v_dual_lshlrev_b32 v47, 1, v84
	s_wait_alu 0xf1ff
	v_cndmask_b32_e64 v46, v46, v86, s0
	global_wb scope:SCOPE_SE
	s_wait_dscnt 0x0
	s_barrier_signal -1
	v_add_co_u32 v6, s0, s4, v4
	v_lshlrev_b64_e32 v[56:57], 3, v[47:48]
	v_and_b32_e32 v47, 0xffff, v89
	s_wait_alu 0xf1ff
	v_add_co_ci_u32_e64 v7, s0, s5, v5, s0
	v_dual_mov_b32 v5, v1 :: v_dual_lshlrev_b32 v4, 1, v46
	s_delay_alu instid0(VALU_DEP_3)
	v_mul_u32_u24_e32 v47, 0x91a3, v47
	s_barrier_wait -1
	global_inv scope:SCOPE_SE
	s_clause 0x1
	global_load_b128 v[48:51], v[2:3], off offset:3520
	global_load_b128 v[52:55], v[6:7], off offset:3520
	v_lshlrev_b64_e32 v[58:59], 3, v[4:5]
	v_add_co_u32 v4, s0, s4, v56
	s_wait_alu 0xf1ff
	v_add_co_ci_u32_e64 v5, s0, s5, v57, s0
	v_dual_mov_b32 v57, v1 :: v_dual_add_nc_u32 v56, 0xb4, v0
	v_lshrrev_b32_e32 v47, 24, v47
	v_add_co_u32 v60, s0, s4, v58
	v_add_nc_u32_e32 v0, 0x1c2, v0
	s_delay_alu instid0(VALU_DEP_4) | instskip(NEXT) | instid1(VALU_DEP_4)
	v_lshlrev_b64_e32 v[103:104], 3, v[56:57]
	v_mul_lo_u16 v109, 0x1c2, v47
	s_wait_alu 0xf1ff
	v_add_co_ci_u32_e64 v61, s0, s5, v59, s0
	s_clause 0x1
	global_load_b128 v[56:59], v[4:5], off offset:3520
	global_load_b128 v[99:102], v[60:61], off offset:3520
	v_add_co_u32 v60, s0, s4, v103
	v_lshlrev_b64_e32 v[107:108], 3, v[0:1]
	v_sub_nc_u16 v0, v89, v109
	s_wait_alu 0xf1ff
	v_add_co_ci_u32_e64 v61, s0, s5, v104, s0
	v_and_b32_e32 v109, 0xffff, v91
	v_mul_u32_u24_e32 v110, 0x91a3, v105
	v_and_b32_e32 v147, 0xffff, v0
	v_and_b32_e32 v0, 0xffff, v92
	global_load_b128 v[103:106], v[60:61], off offset:3520
	v_add_co_u32 v60, s0, s4, v107
	s_wait_alu 0xf1ff
	v_add_co_ci_u32_e64 v61, s0, s5, v108, s0
	v_mul_u32_u24_e32 v107, 0x91a3, v109
	v_mul_u32_u24_e32 v0, 0x91a3, v0
	v_lshrrev_b32_e32 v110, 24, v110
	global_load_b128 v[117:120], v[60:61], off offset:3520
	v_lshlrev_b32_e32 v60, 4, v147
	v_lshrrev_b32_e32 v61, 24, v107
	v_lshrrev_b32_e32 v0, 24, v0
	v_mul_lo_u16 v108, 0x1c2, v110
	v_cmp_lt_u32_e64 s0, 44, v78
	global_load_b128 v[121:124], v60, s[4:5] offset:3520
	v_mul_lo_u16 v60, 0x1c2, v61
	v_mul_lo_u16 v0, 0x1c2, v0
	v_sub_nc_u16 v107, v90, v108
	s_delay_alu instid0(VALU_DEP_3) | instskip(NEXT) | instid1(VALU_DEP_3)
	v_sub_nc_u16 v60, v91, v60
	v_sub_nc_u16 v0, v92, v0
	s_delay_alu instid0(VALU_DEP_3) | instskip(NEXT) | instid1(VALU_DEP_3)
	v_and_b32_e32 v148, 0xffff, v107
	v_and_b32_e32 v149, 0xffff, v60
	s_delay_alu instid0(VALU_DEP_3) | instskip(NEXT) | instid1(VALU_DEP_3)
	v_and_b32_e32 v150, 0xffff, v0
	v_lshlrev_b32_e32 v61, 4, v148
	s_delay_alu instid0(VALU_DEP_3) | instskip(NEXT) | instid1(VALU_DEP_3)
	v_lshlrev_b32_e32 v0, 4, v149
	v_lshlrev_b32_e32 v60, 4, v150
	s_clause 0x2
	global_load_b128 v[125:128], v61, s[4:5] offset:3520
	global_load_b128 v[129:132], v0, s[4:5] offset:3520
	;; [unrolled: 1-line block ×3, first 2 shown]
	ds_load_2addr_b32 v[60:61], v31 offset0:70 offset1:205
	ds_load_2addr_b32 v[107:108], v32 offset0:12 offset1:147
	;; [unrolled: 1-line block ×4, first 2 shown]
	s_wait_loadcnt_dscnt 0x903
	v_mul_f32_e32 v0, v60, v49
	v_mul_f32_e32 v151, v137, v49
	s_wait_dscnt 0x2
	v_mul_f32_e32 v49, v107, v51
	s_wait_loadcnt 0x8
	v_dual_mul_f32 v152, v139, v51 :: v_dual_mul_f32 v153, v138, v53
	v_fma_f32 v137, v137, v48, -v0
	v_fmac_f32_e32 v151, v60, v48
	v_fma_f32 v139, v139, v50, -v49
	ds_load_2addr_b32 v[48:49], v35 offset0:98 offset1:233
	v_fmac_f32_e32 v152, v107, v50
	v_mul_f32_e32 v0, v61, v53
	v_mul_f32_e32 v50, v108, v55
	v_dual_mul_f32 v154, v140, v55 :: v_dual_fmac_f32 v153, v61, v52
	s_delay_alu instid0(VALU_DEP_3) | instskip(NEXT) | instid1(VALU_DEP_3)
	v_fma_f32 v138, v138, v52, -v0
	v_fma_f32 v140, v140, v54, -v50
	ds_load_2addr_b32 v[50:51], v41 offset0:40 offset1:175
	s_wait_loadcnt_dscnt 0x703
	v_mul_f32_e32 v0, v109, v57
	s_wait_dscnt 0x2
	v_dual_mul_f32 v155, v141, v57 :: v_dual_mul_f32 v52, v111, v59
	s_wait_loadcnt 0x6
	v_dual_mul_f32 v53, v110, v100 :: v_dual_mul_f32 v156, v143, v59
	v_fma_f32 v141, v141, v56, -v0
	s_delay_alu instid0(VALU_DEP_3) | instskip(SKIP_1) | instid1(VALU_DEP_4)
	v_fmac_f32_e32 v155, v109, v56
	v_fma_f32 v143, v143, v58, -v52
	v_fma_f32 v115, v142, v99, -v53
	ds_load_2addr_b32 v[52:53], v42 offset0:112 offset1:247
	v_fmac_f32_e32 v154, v108, v54
	ds_load_2addr_b32 v[54:55], v43 offset0:54 offset1:189
	s_wait_loadcnt_dscnt 0x503
	v_mul_f32_e32 v56, v48, v104
	v_mul_f32_e32 v108, v145, v104
	;; [unrolled: 1-line block ×5, first 2 shown]
	v_fma_f32 v60, v145, v103, -v56
	v_fmac_f32_e32 v108, v48, v103
	v_fma_f32 v144, v144, v101, -v0
	s_wait_loadcnt 0x4
	v_mul_f32_e32 v56, v49, v118
	v_mul_f32_e32 v109, v146, v118
	s_wait_dscnt 0x2
	v_mul_f32_e32 v0, v50, v106
	v_dual_fmac_f32 v156, v111, v58 :: v_dual_fmac_f32 v107, v50, v105
	v_fma_f32 v103, v146, v117, -v56
	v_fmac_f32_e32 v109, v49, v117
	ds_load_2addr_b32 v[48:49], v44 offset0:62 offset1:197
	ds_load_2addr_b32 v[117:118], v45 offset0:68 offset1:203
	v_fma_f32 v106, v16, v105, -v0
	s_wait_loadcnt_dscnt 0x303
	v_mul_f32_e32 v16, v52, v122
	s_wait_dscnt 0x2
	v_mul_f32_e32 v50, v54, v124
	v_mul_f32_e32 v58, v12, v124
	v_dual_fmac_f32 v116, v112, v101 :: v_dual_mul_f32 v113, v17, v120
	v_fma_f32 v61, v14, v121, -v16
	v_mul_f32_e32 v142, v142, v100
	v_fma_f32 v102, v12, v123, -v50
	v_mul_f32_e32 v57, v14, v122
	v_fmac_f32_e32 v113, v51, v119
	v_fmac_f32_e32 v58, v54, v123
	s_delay_alu instid0(VALU_DEP_3)
	v_dual_fmac_f32 v142, v110, v99 :: v_dual_fmac_f32 v57, v52, v121
	s_wait_loadcnt 0x2
	v_mul_f32_e32 v104, v15, v126
	v_mul_f32_e32 v12, v55, v128
	s_wait_loadcnt 0x0
	v_dual_mul_f32 v99, v13, v128 :: v_dual_mul_f32 v114, v11, v134
	v_mul_f32_e32 v111, v9, v136
	v_fmac_f32_e32 v104, v53, v125
	v_fma_f32 v110, v13, v127, -v12
	s_wait_dscnt 0x0
	v_mul_f32_e32 v13, v117, v132
	v_dual_fmac_f32 v114, v49, v133 :: v_dual_fmac_f32 v111, v118, v135
	v_mul_f32_e32 v0, v51, v120
	v_mul_f32_e32 v12, v48, v130
	;; [unrolled: 1-line block ×3, first 2 shown]
	v_fma_f32 v101, v8, v131, -v13
	v_mul_f32_e32 v56, v10, v130
	v_fma_f32 v112, v17, v119, -v0
	v_mul_f32_e32 v0, v53, v126
	;; [unrolled: 2-line block ×3, first 2 shown]
	v_fma_f32 v100, v11, v133, -v14
	v_add_f32_e32 v11, v29, v137
	v_fma_f32 v105, v15, v125, -v0
	v_mul_f32_e32 v0, v8, v132
	v_add_f32_e32 v8, v137, v139
	v_fmac_f32_e32 v99, v55, v127
	ds_load_b32 v118, v38
	ds_load_b32 v119, v98
	;; [unrolled: 1-line block ×10, first 2 shown]
	v_fmac_f32_e32 v56, v48, v129
	v_dual_fmac_f32 v0, v117, v131 :: v_dual_fmac_f32 v29, -0.5, v8
	v_sub_f32_e32 v8, v151, v152
	v_fma_f32 v117, v9, v135, -v10
	v_dual_add_f32 v9, v138, v140 :: v_dual_add_f32 v12, v141, v143
	s_delay_alu instid0(VALU_DEP_3) | instskip(SKIP_1) | instid1(VALU_DEP_3)
	v_dual_add_f32 v13, v115, v144 :: v_dual_fmamk_f32 v10, v8, 0x3f5db3d7, v29
	v_dual_fmac_f32 v29, 0xbf5db3d7, v8 :: v_dual_add_f32 v8, v28, v138
	v_dual_fmac_f32 v28, -0.5, v9 :: v_dual_sub_f32 v9, v153, v154
	v_add_f32_e32 v14, v27, v141
	v_add_f32_e32 v11, v11, v139
	v_fmac_f32_e32 v27, -0.5, v12
	v_sub_f32_e32 v12, v155, v156
	v_add_f32_e32 v8, v8, v140
	v_fmamk_f32 v16, v9, 0x3f5db3d7, v28
	v_dual_fmac_f32 v28, 0xbf5db3d7, v9 :: v_dual_add_f32 v15, v26, v115
	v_dual_fmac_f32 v26, -0.5, v13 :: v_dual_sub_f32 v13, v142, v116
	global_wb scope:SCOPE_SE
	s_wait_dscnt 0x0
	s_barrier_signal -1
	s_barrier_wait -1
	global_inv scope:SCOPE_SE
	ds_store_b32 v38, v11
	ds_store_b32 v38, v10 offset:1800
	ds_store_b32 v38, v29 offset:3600
	v_dual_add_f32 v10, v14, v143 :: v_dual_fmamk_f32 v9, v12, 0x3f5db3d7, v27
	v_fmac_f32_e32 v27, 0xbf5db3d7, v12
	ds_store_b32 v98, v8
	ds_store_b32 v98, v16 offset:1800
	ds_store_b32 v98, v28 offset:3600
	ds_store_b32 v97, v10
	ds_store_b32 v97, v9 offset:1800
	ds_store_b32 v97, v27 offset:3600
	v_add_f32_e32 v8, v60, v106
	v_fmamk_f32 v12, v13, 0x3f5db3d7, v26
	v_dual_fmac_f32 v26, 0xbf5db3d7, v13 :: v_dual_lshlrev_b32 v13, 2, v46
	s_wait_alu 0xf1ff
	v_cndmask_b32_e64 v17, 0, 0x1518, s0
	v_add_f32_e32 v10, v25, v60
	v_dual_fmac_f32 v25, -0.5, v8 :: v_dual_sub_f32 v8, v108, v107
	v_lshl_add_u32 v14, v78, 2, 0
	s_delay_alu instid0(VALU_DEP_4)
	v_add3_u32 v128, 0, v17, v13
	v_add_f32_e32 v13, v24, v103
	v_add_f32_e32 v11, v15, v144
	;; [unrolled: 1-line block ×3, first 2 shown]
	v_fmamk_f32 v15, v8, 0x3f5db3d7, v25
	v_fmac_f32_e32 v25, 0xbf5db3d7, v8
	v_add_f32_e32 v8, v151, v152
	v_dual_add_f32 v10, v10, v106 :: v_dual_add_f32 v13, v13, v112
	v_dual_fmac_f32 v24, -0.5, v9 :: v_dual_add_nc_u32 v129, 0x1600, v14
	v_sub_f32_e32 v9, v109, v113
	ds_store_b32 v128, v11
	ds_store_b32 v128, v12 offset:1800
	ds_store_b32 v128, v26 offset:3600
	ds_store_2addr_b32 v129, v10, v13 offset0:32 offset1:167
	v_add_f32_e32 v10, v118, v151
	v_fmac_f32_e32 v118, -0.5, v8
	v_sub_f32_e32 v8, v137, v139
	v_fmamk_f32 v16, v9, 0x3f5db3d7, v24
	v_fmac_f32_e32 v24, 0xbf5db3d7, v9
	v_add_f32_e32 v11, v119, v153
	v_dual_add_f32 v9, v153, v154 :: v_dual_add_f32 v132, v10, v152
	v_fmamk_f32 v133, v8, 0xbf5db3d7, v118
	v_fmac_f32_e32 v118, 0x3f5db3d7, v8
	v_add_f32_e32 v8, v61, v102
	v_add_f32_e32 v10, v105, v110
	v_add_nc_u32_e32 v130, 0x1c00, v14
	v_add_nc_u32_e32 v131, 0x2400, v14
	v_fmac_f32_e32 v119, -0.5, v9
	v_dual_sub_f32 v9, v138, v140 :: v_dual_add_f32 v134, v11, v154
	v_add_f32_e32 v11, v23, v61
	v_dual_fmac_f32 v23, -0.5, v8 :: v_dual_sub_f32 v8, v57, v58
	v_add_f32_e32 v12, v22, v105
	v_fmac_f32_e32 v22, -0.5, v10
	v_dual_sub_f32 v10, v104, v99 :: v_dual_add_f32 v13, v59, v101
	ds_store_2addr_b32 v130, v15, v16 offset0:98 offset1:233
	ds_store_2addr_b32 v131, v25, v24 offset0:36 offset1:171
	v_mul_u32_u24_e32 v16, 0x1518, v47
	v_lshlrev_b32_e32 v17, 2, v147
	v_fmamk_f32 v135, v9, 0xbf5db3d7, v119
	v_fmac_f32_e32 v119, 0x3f5db3d7, v9
	v_fmamk_f32 v9, v8, 0x3f5db3d7, v23
	v_fmac_f32_e32 v23, 0xbf5db3d7, v8
	;; [unrolled: 2-line block ×3, first 2 shown]
	v_add_f32_e32 v10, v18, v59
	v_fmac_f32_e32 v18, -0.5, v13
	v_add_f32_e32 v13, v100, v117
	v_add3_u32 v136, 0, v16, v17
	v_dual_add_f32 v11, v11, v102 :: v_dual_sub_f32 v14, v56, v0
	v_add_f32_e32 v15, v19, v100
	s_delay_alu instid0(VALU_DEP_4)
	v_fmac_f32_e32 v19, -0.5, v13
	v_dual_sub_f32 v13, v114, v111 :: v_dual_add_f32 v12, v12, v110
	v_lshl_add_u32 v137, v148, 2, 0
	v_add_f32_e32 v140, v155, v156
	ds_store_b32 v136, v11
	ds_store_b32 v136, v9 offset:1800
	ds_store_b32 v136, v23 offset:3600
	v_add_f32_e32 v9, v10, v101
	v_lshl_add_u32 v138, v149, 2, 0
	v_fmamk_f32 v24, v14, 0x3f5db3d7, v18
	v_fmac_f32_e32 v18, 0xbf5db3d7, v14
	v_fmamk_f32 v14, v13, 0x3f5db3d7, v19
	v_fmac_f32_e32 v19, 0xbf5db3d7, v13
	v_add_f32_e32 v10, v15, v117
	v_lshl_add_u32 v139, v150, 2, 0
	ds_store_b32 v137, v12 offset:10800
	ds_store_b32 v137, v8 offset:12600
	;; [unrolled: 1-line block ×9, first 2 shown]
	global_wb scope:SCOPE_SE
	s_wait_dscnt 0x0
	s_barrier_signal -1
	s_barrier_wait -1
	global_inv scope:SCOPE_SE
	ds_load_b32 v54, v38
	ds_load_b32 v55, v98
	;; [unrolled: 1-line block ×10, first 2 shown]
	ds_load_2addr_b32 v[26:27], v31 offset0:70 offset1:205
	ds_load_2addr_b32 v[28:29], v32 offset0:12 offset1:147
	;; [unrolled: 1-line block ×10, first 2 shown]
	global_wb scope:SCOPE_SE
	s_wait_dscnt 0x0
	s_barrier_signal -1
	s_barrier_wait -1
	global_inv scope:SCOPE_SE
	ds_store_b32 v38, v132
	ds_store_b32 v38, v133 offset:1800
	ds_store_b32 v38, v118 offset:3600
	v_add_f32_e32 v118, v120, v155
	ds_store_b32 v98, v134
	ds_store_b32 v98, v135 offset:1800
	ds_store_b32 v98, v119 offset:3600
	v_add_f32_e32 v98, v142, v116
	v_fmac_f32_e32 v120, -0.5, v140
	v_sub_f32_e32 v132, v141, v143
	v_add_f32_e32 v118, v118, v156
	v_add_f32_e32 v119, v126, v142
	v_fmac_f32_e32 v126, -0.5, v98
	s_delay_alu instid0(VALU_DEP_4) | instskip(SKIP_1) | instid1(VALU_DEP_4)
	v_dual_sub_f32 v98, v115, v144 :: v_dual_fmamk_f32 v133, v132, 0xbf5db3d7, v120
	v_fmac_f32_e32 v120, 0x3f5db3d7, v132
	v_add_f32_e32 v115, v119, v116
	ds_store_b32 v97, v118
	ds_store_b32 v97, v133 offset:1800
	ds_store_b32 v97, v120 offset:3600
	v_dual_add_f32 v97, v125, v108 :: v_dual_fmamk_f32 v116, v98, 0xbf5db3d7, v126
	v_add_f32_e32 v118, v121, v109
	v_add_f32_e32 v108, v108, v107
	v_fmac_f32_e32 v126, 0x3f5db3d7, v98
	v_add_f32_e32 v98, v109, v113
	v_add_f32_e32 v97, v97, v107
	;; [unrolled: 1-line block ×3, first 2 shown]
	v_dual_fmac_f32 v125, -0.5, v108 :: v_dual_sub_f32 v60, v60, v106
	s_delay_alu instid0(VALU_DEP_4)
	v_dual_fmac_f32 v121, -0.5, v98 :: v_dual_sub_f32 v98, v103, v112
	ds_store_b32 v128, v115
	ds_store_b32 v128, v116 offset:1800
	ds_store_b32 v128, v126 offset:3600
	ds_store_2addr_b32 v129, v97, v107 offset0:32 offset1:167
	v_fmamk_f32 v97, v60, 0xbf5db3d7, v125
	v_dual_fmac_f32 v125, 0x3f5db3d7, v60 :: v_dual_add_f32 v60, v57, v58
	v_fmamk_f32 v103, v98, 0xbf5db3d7, v121
	v_dual_fmac_f32 v121, 0x3f5db3d7, v98 :: v_dual_add_f32 v98, v104, v99
	v_add_f32_e32 v57, v127, v57
	s_delay_alu instid0(VALU_DEP_4) | instskip(NEXT) | instid1(VALU_DEP_3)
	v_dual_fmac_f32 v127, -0.5, v60 :: v_dual_sub_f32 v60, v61, v102
	v_dual_add_f32 v61, v122, v104 :: v_dual_fmac_f32 v122, -0.5, v98
	v_sub_f32_e32 v98, v105, v110
	s_delay_alu instid0(VALU_DEP_3) | instskip(NEXT) | instid1(VALU_DEP_3)
	v_dual_add_f32 v57, v57, v58 :: v_dual_fmamk_f32 v58, v60, 0xbf5db3d7, v127
	v_dual_fmac_f32 v127, 0x3f5db3d7, v60 :: v_dual_add_f32 v60, v61, v99
	v_add_f32_e32 v61, v56, v0
	s_delay_alu instid0(VALU_DEP_4) | instskip(SKIP_2) | instid1(VALU_DEP_4)
	v_fmamk_f32 v99, v98, 0xbf5db3d7, v122
	v_fmac_f32_e32 v122, 0x3f5db3d7, v98
	v_add_f32_e32 v98, v114, v111
	v_dual_add_f32 v56, v123, v56 :: v_dual_fmac_f32 v123, -0.5, v61
	v_sub_f32_e32 v59, v59, v101
	v_add_f32_e32 v61, v124, v114
	s_delay_alu instid0(VALU_DEP_4)
	v_fmac_f32_e32 v124, -0.5, v98
	v_sub_f32_e32 v98, v100, v117
	v_add_f32_e32 v0, v56, v0
	v_fmamk_f32 v56, v59, 0xbf5db3d7, v123
	v_fmac_f32_e32 v123, 0x3f5db3d7, v59
	v_add_f32_e32 v59, v61, v111
	v_fmamk_f32 v61, v98, 0xbf5db3d7, v124
	v_fmac_f32_e32 v124, 0x3f5db3d7, v98
	ds_store_2addr_b32 v130, v97, v103 offset0:98 offset1:233
	ds_store_2addr_b32 v131, v125, v121 offset0:36 offset1:171
	ds_store_b32 v136, v57
	ds_store_b32 v136, v58 offset:1800
	ds_store_b32 v136, v127 offset:3600
	;; [unrolled: 1-line block ×11, first 2 shown]
	global_wb scope:SCOPE_SE
	s_wait_dscnt 0x0
	s_barrier_signal -1
	s_barrier_wait -1
	global_inv scope:SCOPE_SE
	s_and_saveexec_b32 s0, vcc_lo
	s_cbranch_execz .LBB0_15
; %bb.14:
	v_mad_co_u64_u32 v[129:130], null, s8, v77, 0
	v_lshlrev_b32_e32 v0, 1, v92
	s_clause 0x1
	global_load_b128 v[56:59], v[6:7], off offset:10720
	global_load_b128 v[97:100], v[2:3], off offset:10720
	v_mad_co_u64_u32 v[135:136], null, s8, v76, 0
	v_mul_i32_i24_e32 v141, 0xffffffdc, v84
	v_lshlrev_b64_e32 v[2:3], 3, v[0:1]
	v_lshlrev_b32_e32 v0, 1, v91
	v_mad_co_u64_u32 v[131:132], null, s8, v82, 0
	v_mad_co_u64_u32 v[137:138], null, s8, v79, 0
	s_delay_alu instid0(VALU_DEP_3) | instskip(SKIP_4) | instid1(VALU_DEP_4)
	v_lshlrev_b64_e32 v[6:7], 3, v[0:1]
	v_add_co_u32 v2, vcc_lo, s4, v2
	s_wait_alu 0xfffd
	v_add_co_ci_u32_e32 v3, vcc_lo, s5, v3, vcc_lo
	v_lshlrev_b32_e32 v0, 1, v90
	v_add_co_u32 v6, vcc_lo, s4, v6
	s_wait_alu 0xfffd
	v_add_co_ci_u32_e32 v7, vcc_lo, s5, v7, vcc_lo
	global_load_b128 v[101:104], v[2:3], off offset:10720
	v_mad_co_u64_u32 v[125:126], null, s8, v81, 0
	global_load_b128 v[105:108], v[6:7], off offset:10720
	v_lshlrev_b64_e32 v[6:7], 3, v[0:1]
	v_lshlrev_b32_e32 v0, 1, v89
	v_mad_co_u64_u32 v[127:128], null, s8, v83, 0
	v_mad_co_u64_u32 v[133:134], null, s8, v80, 0
	s_delay_alu instid0(VALU_DEP_4)
	v_add_co_u32 v6, vcc_lo, s4, v6
	s_wait_alu 0xfffd
	v_add_co_ci_u32_e32 v7, vcc_lo, s5, v7, vcc_lo
	v_mad_co_u64_u32 v[139:140], null, s8, v75, 0
	global_load_b128 v[109:112], v[6:7], off offset:10720
	v_lshlrev_b64_e32 v[6:7], 3, v[0:1]
	v_lshlrev_b32_e32 v0, 1, v88
	v_mul_i32_i24_e32 v88, 0xffffffdc, v85
	s_delay_alu instid0(VALU_DEP_3) | instskip(SKIP_1) | instid1(VALU_DEP_4)
	v_add_co_u32 v6, vcc_lo, s4, v6
	s_wait_alu 0xfffd
	v_add_co_ci_u32_e32 v7, vcc_lo, s5, v7, vcc_lo
	s_delay_alu instid0(VALU_DEP_3) | instskip(SKIP_3) | instid1(VALU_DEP_2)
	v_add_nc_u32_e32 v142, v30, v88
	global_load_b128 v[89:92], v[6:7], off offset:10720
	v_lshlrev_b64_e32 v[6:7], 3, v[0:1]
	v_lshlrev_b32_e32 v0, 1, v87
	v_add_co_u32 v6, vcc_lo, s4, v6
	s_wait_alu 0xfffd
	s_delay_alu instid0(VALU_DEP_3) | instskip(SKIP_3) | instid1(VALU_DEP_1)
	v_add_co_ci_u32_e32 v7, vcc_lo, s5, v7, vcc_lo
	global_load_b128 v[113:116], v[6:7], off offset:10720
	v_lshlrev_b64_e32 v[6:7], 3, v[0:1]
	v_lshlrev_b32_e32 v0, 1, v86
	v_lshlrev_b64_e32 v[0:1], 3, v[0:1]
	s_delay_alu instid0(VALU_DEP_3) | instskip(SKIP_1) | instid1(VALU_DEP_4)
	v_add_co_u32 v6, vcc_lo, s4, v6
	s_wait_alu 0xfffd
	v_add_co_ci_u32_e32 v7, vcc_lo, s5, v7, vcc_lo
	s_delay_alu instid0(VALU_DEP_3)
	v_add_co_u32 v0, vcc_lo, s4, v0
	s_wait_alu 0xfffd
	v_add_co_ci_u32_e32 v1, vcc_lo, s5, v1, vcc_lo
	s_clause 0x2
	global_load_b128 v[117:120], v[6:7], off offset:10720
	global_load_b128 v[121:124], v[0:1], off offset:10720
	global_load_b128 v[2:5], v[4:5], off offset:10720
	ds_load_2addr_b32 v[0:1], v44 offset0:62 offset1:197
	ds_load_2addr_b32 v[6:7], v45 offset0:68 offset1:203
	;; [unrolled: 1-line block ×8, first 2 shown]
	ds_load_b32 v145, v40
	ds_load_b32 v146, v39
	;; [unrolled: 1-line block ×6, first 2 shown]
	ds_load_2addr_b32 v[39:40], v31 offset0:70 offset1:205
	ds_load_2addr_b32 v[94:95], v32 offset0:12 offset1:147
	ds_load_b32 v93, v93
	ds_load_b32 v150, v38
	v_mad_co_u64_u32 v[37:38], null, s8, v78, 0
	v_add_co_u32 v31, vcc_lo, s10, v20
	s_wait_alu 0xfffd
	v_add_co_ci_u32_e32 v21, vcc_lo, s11, v21, vcc_lo
	v_add_nc_u32_e32 v141, v36, v141
	s_delay_alu instid0(VALU_DEP_4)
	v_dual_mov_b32 v35, v130 :: v_dual_mov_b32 v20, v38
	v_mov_b32_e32 v36, v132
	v_mov_b32_e32 v88, v138
	ds_load_b32 v151, v141
	ds_load_b32 v152, v142
	v_mov_b32_e32 v41, v136
	v_mad_co_u64_u32 v[141:142], null, s9, v78, v[20:21]
	v_mad_co_u64_u32 v[77:78], null, s9, v77, v[35:36]
	;; [unrolled: 1-line block ×3, first 2 shown]
	s_wait_loadcnt_dscnt 0x905
	v_mul_f32_e32 v20, v57, v40
	s_delay_alu instid0(VALU_DEP_1)
	v_fma_f32 v20, v27, v56, -v20
	s_wait_loadcnt 0x4
	v_mad_co_u64_u32 v[78:79], null, s9, v79, v[88:89]
	s_wait_dscnt 0x4
	v_mul_f32_e32 v88, v100, v94
	v_mul_f32_e32 v94, v99, v94
	s_delay_alu instid0(VALU_DEP_1) | instskip(SKIP_2) | instid1(VALU_DEP_2)
	v_fmac_f32_e32 v94, v28, v100
	v_mov_b32_e32 v30, v126
	v_mov_b32_e32 v32, v128
	v_mad_co_u64_u32 v[142:143], null, s9, v81, v[30:31]
	s_delay_alu instid0(VALU_DEP_2) | instskip(SKIP_3) | instid1(VALU_DEP_3)
	v_mad_co_u64_u32 v[143:144], null, s9, v83, v[32:33]
	v_mul_f32_e32 v32, v56, v40
	v_mul_f32_e32 v40, v58, v95
	;; [unrolled: 1-line block ×3, first 2 shown]
	v_fmac_f32_e32 v32, v27, v57
	s_delay_alu instid0(VALU_DEP_3) | instskip(SKIP_1) | instid1(VALU_DEP_4)
	v_fmac_f32_e32 v40, v29, v59
	v_mov_b32_e32 v38, v134
	v_fma_f32 v30, v29, v58, -v30
	s_delay_alu instid0(VALU_DEP_2) | instskip(SKIP_1) | instid1(VALU_DEP_3)
	v_mad_co_u64_u32 v[80:81], null, s9, v80, v[38:39]
	v_mad_co_u64_u32 v[81:82], null, s9, v76, v[41:42]
	v_dual_mul_f32 v41, v98, v39 :: v_dual_sub_f32 v56, v20, v30
	v_dual_add_f32 v57, v20, v30 :: v_dual_add_f32 v20, v55, v20
	v_mul_f32_e32 v39, v97, v39
	s_delay_alu instid0(VALU_DEP_3) | instskip(SKIP_4) | instid1(VALU_DEP_3)
	v_fma_f32 v27, v26, v97, -v41
	v_fma_f32 v41, v28, v99, -v88
	s_wait_dscnt 0x0
	v_add_f32_e32 v28, v32, v152
	v_dual_mov_b32 v136, v81 :: v_dual_fmac_f32 v39, v26, v98
	v_dual_mov_b32 v38, v141 :: v_dual_add_f32 v95, v27, v41
	s_delay_alu instid0(VALU_DEP_3)
	v_add_f32_e32 v29, v40, v28
	v_add_f32_e32 v28, v20, v30
	v_mul_f32_e32 v20, v102, v1
	v_dual_mul_f32 v1, v101, v1 :: v_dual_mov_b32 v134, v80
	v_mul_f32_e32 v30, v104, v7
	v_mul_f32_e32 v7, v103, v7
	s_delay_alu instid0(VALU_DEP_4) | instskip(NEXT) | instid1(VALU_DEP_4)
	v_fma_f32 v20, v23, v101, -v20
	v_fmac_f32_e32 v1, v23, v102
	v_mul_f32_e32 v23, v106, v0
	s_delay_alu instid0(VALU_DEP_4)
	v_dual_mov_b32 v138, v78 :: v_dual_fmac_f32 v7, v25, v104
	v_fma_f32 v30, v25, v103, -v30
	v_mul_f32_e32 v25, v108, v6
	v_mul_f32_e32 v6, v107, v6
	v_fma_f32 v23, v22, v105, -v23
	v_add_f32_e32 v98, v54, v27
	v_dual_add_f32 v26, v32, v40 :: v_dual_sub_f32 v59, v27, v41
	v_add_f32_e32 v88, v39, v150
	v_dual_sub_f32 v97, v39, v94 :: v_dual_fmac_f32 v6, v24, v108
	v_sub_f32_e32 v58, v32, v40
	v_add_f32_e32 v32, v39, v94
	v_fma_f32 v39, -0.5, v95, v54
	s_wait_loadcnt 0x0
	v_dual_add_f32 v54, v98, v41 :: v_dual_mul_f32 v41, v3, v86
	v_mul_f32_e32 v86, v2, v86
	v_mov_b32_e32 v132, v35
	v_lshlrev_b64_e32 v[35:36], 3, v[37:38]
	v_fma_f32 v40, -0.5, v32, v150
	v_mov_b32_e32 v130, v77
	v_dual_fmac_f32 v86, v8, v3 :: v_dual_add_f32 v3, v1, v145
	v_lshlrev_b64_e32 v[82:83], 3, v[133:134]
	v_add_co_u32 v35, vcc_lo, v31, v35
	s_wait_alu 0xfffd
	v_add_co_ci_u32_e32 v36, vcc_lo, v21, v36, vcc_lo
	v_add_f32_e32 v3, v7, v3
	v_fma_f32 v27, -0.5, v26, v152
	v_fma_f32 v26, -0.5, v57, v55
	v_dual_add_f32 v55, v94, v88 :: v_dual_mul_f32 v94, v4, v33
	v_fmamk_f32 v57, v59, 0x3f5db3d7, v40
	v_lshlrev_b64_e32 v[78:79], 3, v[129:130]
	v_fmac_f32_e32 v40, 0xbf5db3d7, v59
	global_store_b64 v[35:36], v[54:55], off
	v_mul_f32_e32 v35, v105, v0
	v_fma_f32 v0, v8, v2, -v41
	v_sub_f32_e32 v8, v20, v30
	v_mul_f32_e32 v88, v5, v33
	v_dual_fmac_f32 v94, v10, v5 :: v_dual_add_f32 v5, v20, v30
	s_delay_alu instid0(VALU_DEP_4) | instskip(SKIP_3) | instid1(VALU_DEP_4)
	v_dual_add_f32 v41, v51, v0 :: v_dual_mov_b32 v126, v142
	v_dual_fmamk_f32 v33, v56, 0x3f5db3d7, v27 :: v_dual_mov_b32 v128, v143
	v_fmac_f32_e32 v27, 0xbf5db3d7, v56
	v_fmamk_f32 v56, v97, 0xbf5db3d7, v39
	v_lshlrev_b64_e32 v[37:38], 3, v[125:126]
	v_fmac_f32_e32 v39, 0x3f5db3d7, v97
	v_lshlrev_b64_e32 v[76:77], 3, v[127:128]
	v_fma_f32 v4, v10, v4, -v88
	v_fmac_f32_e32 v35, v22, v106
	v_mul_f32_e32 v22, v110, v45
	v_add_co_u32 v37, vcc_lo, v31, v37
	s_wait_alu 0xfffd
	v_add_co_ci_u32_e32 v38, vcc_lo, v21, v38, vcc_lo
	v_add_co_u32 v76, vcc_lo, v31, v76
	s_wait_alu 0xfffd
	v_add_co_ci_u32_e32 v77, vcc_lo, v21, v77, vcc_lo
	;; [unrolled: 3-line block ×3, first 2 shown]
	s_clause 0x2
	global_store_b64 v[37:38], v[39:40], off
	global_store_b64 v[76:77], v[56:57], off
	;; [unrolled: 1-line block ×3, first 2 shown]
	v_mul_f32_e32 v29, v109, v45
	v_add_f32_e32 v20, v53, v20
	v_sub_f32_e32 v36, v0, v4
	v_add_f32_e32 v39, v0, v4
	v_fma_f32 v0, -0.5, v5, v53
	v_fma_f32 v53, v17, v109, -v22
	v_fmac_f32_e32 v29, v17, v110
	v_mul_f32_e32 v17, v90, v44
	v_mul_f32_e32 v44, v89, v44
	;; [unrolled: 1-line block ×3, first 2 shown]
	v_fma_f32 v28, v24, v107, -v25
	v_mul_f32_e32 v24, v112, v43
	v_mul_f32_e32 v37, v111, v43
	v_add_f32_e32 v45, v52, v23
	v_mul_f32_e32 v55, v92, v42
	v_fmac_f32_e32 v44, v16, v90
	v_fmac_f32_e32 v56, v18, v92
	v_add_f32_e32 v2, v1, v7
	v_sub_f32_e32 v10, v1, v7
	v_dual_add_f32 v38, v86, v151 :: v_dual_mul_f32 v57, v117, v60
	v_add_f32_e32 v7, v35, v6
	v_add_f32_e32 v43, v23, v28
	v_fma_f32 v54, v19, v111, -v24
	v_fmac_f32_e32 v37, v19, v112
	v_add_f32_e32 v19, v45, v28
	v_fma_f32 v45, v18, v91, -v55
	v_sub_f32_e32 v55, v44, v56
	v_fma_f32 v1, -0.5, v2, v145
	v_dual_add_f32 v2, v20, v30 :: v_dual_mul_f32 v59, v122, v87
	v_add_f32_e32 v20, v35, v146
	v_dual_sub_f32 v35, v35, v6 :: v_dual_fmamk_f32 v32, v58, 0xbf5db3d7, v26
	v_fmac_f32_e32 v26, 0x3f5db3d7, v58
	v_mul_f32_e32 v58, v119, v84
	v_dual_sub_f32 v30, v23, v28 :: v_dual_fmac_f32 v57, v12, v118
	v_fma_f32 v7, -0.5, v7, v146
	v_mul_f32_e32 v18, v114, v61
	s_delay_alu instid0(VALU_DEP_4)
	v_fmac_f32_e32 v58, v14, v120
	v_add_f32_e32 v20, v6, v20
	v_fma_f32 v6, -0.5, v43, v52
	v_mul_f32_e32 v52, v113, v61
	v_fma_f32 v22, -0.5, v39, v51
	v_add_f32_e32 v39, v53, v54
	v_fma_f32 v43, v16, v89, -v17
	v_mul_f32_e32 v51, v116, v85
	v_fmamk_f32 v17, v30, 0x3f5db3d7, v7
	v_fmamk_f32 v5, v8, 0x3f5db3d7, v1
	v_dual_fmac_f32 v1, 0xbf5db3d7, v8 :: v_dual_sub_f32 v8, v53, v54
	v_fma_f32 v18, v13, v113, -v18
	v_dual_fmac_f32 v52, v13, v114 :: v_dual_mul_f32 v13, v118, v60
	v_dual_mul_f32 v60, v124, v34 :: v_dual_mul_f32 v61, v121, v87
	v_add_f32_e32 v42, v50, v53
	v_mul_f32_e32 v53, v115, v85
	v_mul_f32_e32 v34, v123, v34
	v_fmac_f32_e32 v7, 0xbf5db3d7, v30
	v_fmac_f32_e32 v61, v9, v122
	v_add_f32_e32 v25, v86, v94
	v_fma_f32 v51, v15, v115, -v51
	v_fmac_f32_e32 v53, v15, v116
	v_mul_f32_e32 v15, v120, v84
	v_fmac_f32_e32 v34, v11, v124
	v_fmamk_f32 v16, v35, 0xbf5db3d7, v6
	v_fmac_f32_e32 v6, 0x3f5db3d7, v35
	v_fma_f32 v35, -0.5, v39, v50
	v_add_f32_e32 v50, v44, v93
	v_fma_f32 v23, -0.5, v25, v151
	v_dual_add_f32 v25, v94, v38 :: v_dual_add_f32 v24, v41, v4
	v_fmamk_f32 v4, v10, 0xbf5db3d7, v0
	v_add_f32_e32 v38, v29, v147
	v_dual_sub_f32 v41, v29, v37 :: v_dual_add_f32 v30, v44, v56
	v_add_f32_e32 v44, v56, v50
	v_fma_f32 v56, v14, v119, -v15
	v_fmac_f32_e32 v0, 0x3f5db3d7, v10
	v_add_f32_e32 v10, v29, v37
	v_add_f32_e32 v38, v37, v38
	v_dual_add_f32 v37, v42, v54 :: v_dual_add_f32 v54, v43, v45
	v_fmamk_f32 v39, v41, 0xbf5db3d7, v35
	v_fmamk_f32 v29, v36, 0x3f5db3d7, v23
	v_fmac_f32_e32 v23, 0xbf5db3d7, v36
	v_fma_f32 v36, -0.5, v10, v147
	v_dual_sub_f32 v10, v43, v45 :: v_dual_add_f32 v43, v49, v43
	v_dual_sub_f32 v40, v86, v94 :: v_dual_fmac_f32 v35, 0x3f5db3d7, v41
	v_fma_f32 v42, -0.5, v30, v93
	v_fma_f32 v41, -0.5, v54, v49
	s_delay_alu instid0(VALU_DEP_4) | instskip(SKIP_4) | instid1(VALU_DEP_4)
	v_add_f32_e32 v43, v43, v45
	v_add_f32_e32 v45, v52, v96
	;; [unrolled: 1-line block ×3, first 2 shown]
	v_sub_f32_e32 v52, v52, v53
	v_fmamk_f32 v28, v40, 0xbf5db3d7, v22
	v_dual_fmac_f32 v22, 0x3f5db3d7, v40 :: v_dual_add_f32 v49, v53, v45
	v_fma_f32 v53, v9, v121, -v59
	v_add_f32_e32 v50, v18, v51
	v_fma_f32 v54, v12, v117, -v13
	v_fmamk_f32 v13, v10, 0x3f5db3d7, v42
	s_delay_alu instid0(VALU_DEP_4)
	v_dual_fmac_f32 v42, 0xbf5db3d7, v10 :: v_dual_add_f32 v59, v46, v53
	v_fmamk_f32 v40, v8, 0x3f5db3d7, v36
	v_fmac_f32_e32 v36, 0xbf5db3d7, v8
	v_sub_f32_e32 v8, v18, v51
	v_add_f32_e32 v18, v48, v18
	v_fma_f32 v14, -0.5, v50, v48
	v_dual_add_f32 v45, v54, v56 :: v_dual_add_f32 v50, v47, v54
	v_fmamk_f32 v12, v55, 0xbf5db3d7, v41
	s_delay_alu instid0(VALU_DEP_4)
	v_add_f32_e32 v48, v18, v51
	v_sub_f32_e32 v18, v54, v56
	v_fma_f32 v54, v11, v123, -v60
	v_fmac_f32_e32 v41, 0x3f5db3d7, v55
	v_fma_f32 v15, -0.5, v30, v96
	v_add_f32_e32 v10, v57, v58
	v_add_f32_e32 v30, v57, v148
	v_sub_f32_e32 v55, v57, v58
	v_dual_add_f32 v57, v53, v54 :: v_dual_add_f32 v50, v50, v56
	s_delay_alu instid0(VALU_DEP_4) | instskip(NEXT) | instid1(VALU_DEP_4)
	v_fma_f32 v11, -0.5, v10, v148
	v_add_f32_e32 v51, v58, v30
	v_fma_f32 v10, -0.5, v45, v47
	v_add_f32_e32 v56, v61, v149
	v_sub_f32_e32 v58, v61, v34
	v_fma_f32 v46, -0.5, v57, v46
	v_fmamk_f32 v9, v8, 0x3f5db3d7, v15
	v_dual_fmac_f32 v15, 0xbf5db3d7, v8 :: v_dual_fmamk_f32 v8, v52, 0xbf5db3d7, v14
	v_fmac_f32_e32 v14, 0x3f5db3d7, v52
	v_sub_f32_e32 v30, v53, v54
	v_fmamk_f32 v52, v55, 0xbf5db3d7, v10
	v_dual_fmac_f32 v10, 0x3f5db3d7, v55 :: v_dual_add_f32 v55, v34, v56
	v_add_f32_e32 v54, v59, v54
	v_fmamk_f32 v56, v58, 0xbf5db3d7, v46
	v_fmac_f32_e32 v46, 0x3f5db3d7, v58
	v_mad_co_u64_u32 v[58:59], null, s8, v72, 0
	v_lshlrev_b64_e32 v[80:81], 3, v[131:132]
	v_fmamk_f32 v53, v18, 0x3f5db3d7, v11
	v_dual_fmac_f32 v11, 0xbf5db3d7, v18 :: v_dual_mov_b32 v18, v140
	v_lshlrev_b64_e32 v[125:126], 3, v[135:136]
	v_lshlrev_b64_e32 v[127:128], 3, v[137:138]
	v_add_co_u32 v80, vcc_lo, v31, v80
	s_delay_alu instid0(VALU_DEP_4)
	v_mad_co_u64_u32 v[75:76], null, s9, v75, v[18:19]
	v_mov_b32_e32 v18, v59
	s_wait_alu 0xfffd
	v_add_co_ci_u32_e32 v81, vcc_lo, v21, v81, vcc_lo
	v_add_co_u32 v82, vcc_lo, v31, v82
	v_add_f32_e32 v45, v61, v34
	v_mad_co_u64_u32 v[84:85], null, s8, v74, 0
	s_wait_alu 0xfffd
	v_add_co_ci_u32_e32 v83, vcc_lo, v21, v83, vcc_lo
	v_mad_co_u64_u32 v[78:79], null, s9, v72, v[18:19]
	v_add_co_u32 v60, vcc_lo, v31, v125
	v_fma_f32 v47, -0.5, v45, v149
	s_wait_alu 0xfffd
	v_add_co_ci_u32_e32 v61, vcc_lo, v21, v126, vcc_lo
	v_add_co_u32 v76, vcc_lo, v31, v127
	v_mov_b32_e32 v140, v75
	s_wait_alu 0xfffd
	v_add_co_ci_u32_e32 v77, vcc_lo, v21, v128, vcc_lo
	v_dual_mov_b32 v18, v85 :: v_dual_fmamk_f32 v57, v30, 0x3f5db3d7, v47
	s_clause 0x3
	global_store_b64 v[80:81], v[26:27], off
	global_store_b64 v[82:83], v[32:33], off
	;; [unrolled: 1-line block ×4, first 2 shown]
	v_mov_b32_e32 v59, v78
	v_mad_co_u64_u32 v[24:25], null, s8, v73, 0
	v_lshlrev_b64_e32 v[22:23], 3, v[139:140]
	v_mad_co_u64_u32 v[32:33], null, s9, v74, v[18:19]
	s_delay_alu instid0(VALU_DEP_4) | instskip(SKIP_1) | instid1(VALU_DEP_4)
	v_lshlrev_b64_e32 v[26:27], 3, v[58:59]
	v_mad_co_u64_u32 v[33:34], null, s8, v69, 0
	v_add_co_u32 v22, vcc_lo, v31, v22
	v_mov_b32_e32 v18, v25
	s_wait_alu 0xfffd
	v_add_co_ci_u32_e32 v23, vcc_lo, v21, v23, vcc_lo
	v_add_co_u32 v25, vcc_lo, v31, v26
	s_wait_alu 0xfffd
	v_add_co_ci_u32_e32 v26, vcc_lo, v21, v27, vcc_lo
	v_mad_co_u64_u32 v[58:59], null, s9, v73, v[18:19]
	v_dual_mov_b32 v85, v32 :: v_dual_mov_b32 v18, v34
	v_mad_co_u64_u32 v[59:60], null, s8, v71, 0
	s_clause 0x1
	global_store_b64 v[22:23], v[28:29], off
	global_store_b64 v[25:26], v[54:55], off
	v_lshlrev_b64_e32 v[22:23], 3, v[84:85]
	v_mad_co_u64_u32 v[26:27], null, s9, v69, v[18:19]
	v_mad_co_u64_u32 v[27:28], null, s8, v70, 0
	v_dual_mov_b32 v18, v60 :: v_dual_mov_b32 v25, v58
	s_delay_alu instid0(VALU_DEP_4)
	v_add_co_u32 v22, vcc_lo, v31, v22
	v_fmac_f32_e32 v47, 0xbf5db3d7, v30
	s_wait_alu 0xfffd
	v_add_co_ci_u32_e32 v23, vcc_lo, v21, v23, vcc_lo
	v_mov_b32_e32 v34, v26
	v_mad_co_u64_u32 v[29:30], null, s9, v71, v[18:19]
	v_lshlrev_b64_e32 v[24:25], 3, v[24:25]
	v_mov_b32_e32 v18, v28
	global_store_b64 v[22:23], v[46:47], off
	v_lshlrev_b64_e32 v[22:23], 3, v[33:34]
	v_mad_co_u64_u32 v[32:33], null, s8, v66, 0
	v_add_co_u32 v24, vcc_lo, v31, v24
	v_mov_b32_e32 v60, v29
	v_mad_co_u64_u32 v[28:29], null, s9, v70, v[18:19]
	s_wait_alu 0xfffd
	v_add_co_ci_u32_e32 v25, vcc_lo, v21, v25, vcc_lo
	v_add_co_u32 v22, vcc_lo, v31, v22
	s_wait_alu 0xfffd
	v_add_co_ci_u32_e32 v23, vcc_lo, v21, v23, vcc_lo
	v_mov_b32_e32 v18, v33
	v_mul_hi_u32 v33, 0xc22e4507, v65
	v_lshlrev_b64_e32 v[29:30], 3, v[59:60]
	s_clause 0x1
	global_store_b64 v[24:25], v[56:57], off
	global_store_b64 v[22:23], v[50:51], off
	v_lshlrev_b64_e32 v[24:25], 3, v[27:28]
	v_mad_co_u64_u32 v[26:27], null, s8, v68, 0
	v_add_co_u32 v22, vcc_lo, v31, v29
	v_mad_co_u64_u32 v[28:29], null, s9, v66, v[18:19]
	v_lshrrev_b32_e32 v34, 10, v33
	s_wait_alu 0xfffd
	v_add_co_ci_u32_e32 v23, vcc_lo, v21, v30, vcc_lo
	v_mad_co_u64_u32 v[29:30], null, s8, v67, 0
	v_mov_b32_e32 v18, v27
	v_mad_u32_u24 v34, 0xa8c, v34, v65
	v_add_co_u32 v24, vcc_lo, v31, v24
	s_wait_alu 0xfffd
	v_add_co_ci_u32_e32 v25, vcc_lo, v21, v25, vcc_lo
	v_mov_b32_e32 v33, v28
	v_mad_co_u64_u32 v[27:28], null, s9, v68, v[18:19]
	v_mov_b32_e32 v18, v30
	global_store_b64 v[22:23], v[10:11], off
	v_mad_co_u64_u32 v[22:23], null, s8, v34, 0
	global_store_b64 v[24:25], v[52:53], off
	v_lshlrev_b64_e32 v[10:11], 3, v[32:33]
	v_mad_co_u64_u32 v[24:25], null, s9, v67, v[18:19]
	v_add_nc_u32_e32 v32, 0x546, v34
	v_lshlrev_b64_e32 v[25:26], 3, v[26:27]
	v_mov_b32_e32 v18, v23
	v_add_co_u32 v10, vcc_lo, v31, v10
	s_delay_alu instid0(VALU_DEP_4)
	v_mad_co_u64_u32 v[27:28], null, s8, v32, 0
	s_wait_alu 0xfffd
	v_add_co_ci_u32_e32 v11, vcc_lo, v21, v11, vcc_lo
	v_mov_b32_e32 v30, v24
	v_mad_co_u64_u32 v[23:24], null, s9, v34, v[18:19]
	v_add_co_u32 v24, vcc_lo, v31, v25
	s_wait_alu 0xfffd
	v_add_co_ci_u32_e32 v25, vcc_lo, v21, v26, vcc_lo
	v_mul_hi_u32 v26, 0xc22e4507, v64
	global_store_b64 v[10:11], v[48:49], off
	v_lshlrev_b64_e32 v[10:11], 3, v[29:30]
	v_dual_mov_b32 v18, v28 :: v_dual_add_nc_u32 v33, 0xa8c, v34
	v_lshlrev_b64_e32 v[22:23], 3, v[22:23]
	s_delay_alu instid0(VALU_DEP_3) | instskip(NEXT) | instid1(VALU_DEP_3)
	v_add_co_u32 v10, vcc_lo, v31, v10
	v_mad_co_u64_u32 v[28:29], null, s9, v32, v[18:19]
	v_lshrrev_b32_e32 v18, 10, v26
	s_wait_alu 0xfffd
	v_add_co_ci_u32_e32 v11, vcc_lo, v21, v11, vcc_lo
	v_mad_co_u64_u32 v[29:30], null, s8, v33, 0
	s_clause 0x1
	global_store_b64 v[24:25], v[14:15], off
	global_store_b64 v[10:11], v[8:9], off
	v_mad_u32_u24 v11, 0xa8c, v18, v64
	v_add_co_u32 v22, vcc_lo, v31, v22
	v_lshlrev_b64_e32 v[9:10], 3, v[27:28]
	s_wait_alu 0xfffd
	v_add_co_ci_u32_e32 v23, vcc_lo, v21, v23, vcc_lo
	v_mad_co_u64_u32 v[14:15], null, s8, v11, 0
	v_mov_b32_e32 v8, v30
	v_add_nc_u32_e32 v18, 0x546, v11
	global_store_b64 v[22:23], v[43:44], off
	v_add_nc_u32_e32 v27, 0xa8c, v11
	v_mad_co_u64_u32 v[22:23], null, s9, v33, v[8:9]
	v_add_co_u32 v8, vcc_lo, v31, v9
	s_wait_alu 0xfffd
	v_add_co_ci_u32_e32 v9, vcc_lo, v21, v10, vcc_lo
	v_mov_b32_e32 v10, v15
	v_mad_co_u64_u32 v[23:24], null, s8, v18, 0
	v_mov_b32_e32 v30, v22
	v_mul_hi_u32 v22, 0xc22e4507, v63
	s_delay_alu instid0(VALU_DEP_4)
	v_mad_co_u64_u32 v[10:11], null, s9, v11, v[10:11]
	v_mad_co_u64_u32 v[25:26], null, s8, v27, 0
	v_mov_b32_e32 v11, v24
	global_store_b64 v[8:9], v[41:42], off
	v_lshlrev_b64_e32 v[8:9], 3, v[29:30]
	v_mov_b32_e32 v15, v10
	v_mad_co_u64_u32 v[10:11], null, s9, v18, v[11:12]
	v_lshrrev_b32_e32 v18, 10, v22
	v_mov_b32_e32 v11, v26
	s_delay_alu instid0(VALU_DEP_4) | instskip(SKIP_1) | instid1(VALU_DEP_4)
	v_lshlrev_b64_e32 v[14:15], 3, v[14:15]
	v_add_co_u32 v8, vcc_lo, v31, v8
	v_mad_u32_u24 v18, 0xa8c, v18, v63
	s_wait_alu 0xfffd
	v_add_co_ci_u32_e32 v9, vcc_lo, v21, v9, vcc_lo
	v_mad_co_u64_u32 v[26:27], null, s9, v27, v[11:12]
	s_delay_alu instid0(VALU_DEP_3)
	v_mad_co_u64_u32 v[27:28], null, s8, v18, 0
	v_mov_b32_e32 v24, v10
	v_add_co_u32 v10, vcc_lo, v31, v14
	s_wait_alu 0xfffd
	v_add_co_ci_u32_e32 v11, vcc_lo, v21, v15, vcc_lo
	global_store_b64 v[8:9], v[12:13], off
	v_mov_b32_e32 v8, v28
	v_lshlrev_b64_e32 v[12:13], 3, v[23:24]
	global_store_b64 v[10:11], v[37:38], off
	v_lshlrev_b64_e32 v[9:10], 3, v[25:26]
	v_mul_hi_u32 v22, 0xc22e4507, v62
	v_add_co_u32 v11, vcc_lo, v31, v12
	s_delay_alu instid0(VALU_DEP_3)
	v_mad_co_u64_u32 v[14:15], null, s9, v18, v[8:9]
	v_add_nc_u32_e32 v15, 0x546, v18
	s_wait_alu 0xfffd
	v_add_co_ci_u32_e32 v12, vcc_lo, v21, v13, vcc_lo
	v_add_co_u32 v8, vcc_lo, v31, v9
	s_wait_alu 0xfffd
	v_add_co_ci_u32_e32 v9, vcc_lo, v21, v10, vcc_lo
	v_mov_b32_e32 v28, v14
	v_mad_co_u64_u32 v[13:14], null, s8, v15, 0
	v_lshrrev_b32_e32 v10, 10, v22
	v_add_nc_u32_e32 v18, 0xa8c, v18
	s_clause 0x1
	global_store_b64 v[11:12], v[35:36], off
	global_store_b64 v[8:9], v[39:40], off
	v_lshlrev_b64_e32 v[8:9], 3, v[27:28]
	v_mad_u32_u24 v26, 0xa8c, v10, v62
	v_mov_b32_e32 v12, v14
	v_mad_co_u64_u32 v[10:11], null, s8, v18, 0
	s_delay_alu instid0(VALU_DEP_3) | instskip(NEXT) | instid1(VALU_DEP_3)
	v_mad_co_u64_u32 v[22:23], null, s8, v26, 0
	v_mad_co_u64_u32 v[14:15], null, s9, v15, v[12:13]
	v_add_nc_u32_e32 v15, 0x546, v26
	s_delay_alu instid0(VALU_DEP_4) | instskip(SKIP_2) | instid1(VALU_DEP_4)
	v_mad_co_u64_u32 v[11:12], null, s9, v18, v[11:12]
	v_add_co_u32 v8, vcc_lo, v31, v8
	v_mov_b32_e32 v12, v23
	v_mad_co_u64_u32 v[24:25], null, s8, v15, 0
	v_add_nc_u32_e32 v18, 0xa8c, v26
	s_wait_alu 0xfffd
	v_add_co_ci_u32_e32 v9, vcc_lo, v21, v9, vcc_lo
	v_mad_co_u64_u32 v[26:27], null, s9, v26, v[12:13]
	s_delay_alu instid0(VALU_DEP_3)
	v_mad_co_u64_u32 v[27:28], null, s8, v18, 0
	global_store_b64 v[8:9], v[19:20], off
	v_mov_b32_e32 v8, v25
	v_lshlrev_b64_e32 v[10:11], 3, v[10:11]
	v_lshlrev_b64_e32 v[12:13], 3, v[13:14]
	v_mov_b32_e32 v23, v26
	s_delay_alu instid0(VALU_DEP_4) | instskip(SKIP_1) | instid1(VALU_DEP_4)
	v_mad_co_u64_u32 v[8:9], null, s9, v15, v[8:9]
	v_mov_b32_e32 v9, v28
	v_add_co_u32 v12, vcc_lo, v31, v12
	s_wait_alu 0xfffd
	v_add_co_ci_u32_e32 v13, vcc_lo, v21, v13, vcc_lo
	s_delay_alu instid0(VALU_DEP_3)
	v_mad_co_u64_u32 v[14:15], null, s9, v18, v[9:10]
	v_lshlrev_b64_e32 v[18:19], 3, v[22:23]
	v_mov_b32_e32 v25, v8
	v_add_co_u32 v8, vcc_lo, v31, v10
	s_wait_alu 0xfffd
	v_add_co_ci_u32_e32 v9, vcc_lo, v21, v11, vcc_lo
	v_mov_b32_e32 v28, v14
	v_lshlrev_b64_e32 v[10:11], 3, v[24:25]
	v_add_co_u32 v14, vcc_lo, v31, v18
	s_wait_alu 0xfffd
	v_add_co_ci_u32_e32 v15, vcc_lo, v21, v19, vcc_lo
	v_lshlrev_b64_e32 v[18:19], 3, v[27:28]
	s_delay_alu instid0(VALU_DEP_4) | instskip(SKIP_2) | instid1(VALU_DEP_3)
	v_add_co_u32 v10, vcc_lo, v31, v10
	s_wait_alu 0xfffd
	v_add_co_ci_u32_e32 v11, vcc_lo, v21, v11, vcc_lo
	v_add_co_u32 v18, vcc_lo, v31, v18
	s_wait_alu 0xfffd
	v_add_co_ci_u32_e32 v19, vcc_lo, v21, v19, vcc_lo
	s_clause 0x4
	global_store_b64 v[12:13], v[6:7], off
	global_store_b64 v[8:9], v[16:17], off
	;; [unrolled: 1-line block ×5, first 2 shown]
.LBB0_15:
	s_nop 0
	s_sendmsg sendmsg(MSG_DEALLOC_VGPRS)
	s_endpgm
	.section	.rodata,"a",@progbits
	.p2align	6, 0x0
	.amdhsa_kernel fft_rtc_fwd_len4050_factors_10_5_3_3_3_3_wgs_135_tpt_135_halfLds_sp_ip_CI_sbrr_dirReg
		.amdhsa_group_segment_fixed_size 0
		.amdhsa_private_segment_fixed_size 0
		.amdhsa_kernarg_size 88
		.amdhsa_user_sgpr_count 2
		.amdhsa_user_sgpr_dispatch_ptr 0
		.amdhsa_user_sgpr_queue_ptr 0
		.amdhsa_user_sgpr_kernarg_segment_ptr 1
		.amdhsa_user_sgpr_dispatch_id 0
		.amdhsa_user_sgpr_private_segment_size 0
		.amdhsa_wavefront_size32 1
		.amdhsa_uses_dynamic_stack 0
		.amdhsa_enable_private_segment 0
		.amdhsa_system_sgpr_workgroup_id_x 1
		.amdhsa_system_sgpr_workgroup_id_y 0
		.amdhsa_system_sgpr_workgroup_id_z 0
		.amdhsa_system_sgpr_workgroup_info 0
		.amdhsa_system_vgpr_workitem_id 0
		.amdhsa_next_free_vgpr 171
		.amdhsa_next_free_sgpr 35
		.amdhsa_reserve_vcc 1
		.amdhsa_float_round_mode_32 0
		.amdhsa_float_round_mode_16_64 0
		.amdhsa_float_denorm_mode_32 3
		.amdhsa_float_denorm_mode_16_64 3
		.amdhsa_fp16_overflow 0
		.amdhsa_workgroup_processor_mode 1
		.amdhsa_memory_ordered 1
		.amdhsa_forward_progress 0
		.amdhsa_round_robin_scheduling 0
		.amdhsa_exception_fp_ieee_invalid_op 0
		.amdhsa_exception_fp_denorm_src 0
		.amdhsa_exception_fp_ieee_div_zero 0
		.amdhsa_exception_fp_ieee_overflow 0
		.amdhsa_exception_fp_ieee_underflow 0
		.amdhsa_exception_fp_ieee_inexact 0
		.amdhsa_exception_int_div_zero 0
	.end_amdhsa_kernel
	.text
.Lfunc_end0:
	.size	fft_rtc_fwd_len4050_factors_10_5_3_3_3_3_wgs_135_tpt_135_halfLds_sp_ip_CI_sbrr_dirReg, .Lfunc_end0-fft_rtc_fwd_len4050_factors_10_5_3_3_3_3_wgs_135_tpt_135_halfLds_sp_ip_CI_sbrr_dirReg
                                        ; -- End function
	.section	.AMDGPU.csdata,"",@progbits
; Kernel info:
; codeLenInByte = 23556
; NumSgprs: 37
; NumVgprs: 171
; ScratchSize: 0
; MemoryBound: 0
; FloatMode: 240
; IeeeMode: 1
; LDSByteSize: 0 bytes/workgroup (compile time only)
; SGPRBlocks: 4
; VGPRBlocks: 21
; NumSGPRsForWavesPerEU: 37
; NumVGPRsForWavesPerEU: 171
; Occupancy: 8
; WaveLimiterHint : 1
; COMPUTE_PGM_RSRC2:SCRATCH_EN: 0
; COMPUTE_PGM_RSRC2:USER_SGPR: 2
; COMPUTE_PGM_RSRC2:TRAP_HANDLER: 0
; COMPUTE_PGM_RSRC2:TGID_X_EN: 1
; COMPUTE_PGM_RSRC2:TGID_Y_EN: 0
; COMPUTE_PGM_RSRC2:TGID_Z_EN: 0
; COMPUTE_PGM_RSRC2:TIDIG_COMP_CNT: 0
	.text
	.p2alignl 7, 3214868480
	.fill 96, 4, 3214868480
	.type	__hip_cuid_94dd3de4f063b3b7,@object ; @__hip_cuid_94dd3de4f063b3b7
	.section	.bss,"aw",@nobits
	.globl	__hip_cuid_94dd3de4f063b3b7
__hip_cuid_94dd3de4f063b3b7:
	.byte	0                               ; 0x0
	.size	__hip_cuid_94dd3de4f063b3b7, 1

	.ident	"AMD clang version 19.0.0git (https://github.com/RadeonOpenCompute/llvm-project roc-6.4.0 25133 c7fe45cf4b819c5991fe208aaa96edf142730f1d)"
	.section	".note.GNU-stack","",@progbits
	.addrsig
	.addrsig_sym __hip_cuid_94dd3de4f063b3b7
	.amdgpu_metadata
---
amdhsa.kernels:
  - .args:
      - .actual_access:  read_only
        .address_space:  global
        .offset:         0
        .size:           8
        .value_kind:     global_buffer
      - .offset:         8
        .size:           8
        .value_kind:     by_value
      - .actual_access:  read_only
        .address_space:  global
        .offset:         16
        .size:           8
        .value_kind:     global_buffer
      - .actual_access:  read_only
        .address_space:  global
        .offset:         24
        .size:           8
        .value_kind:     global_buffer
      - .offset:         32
        .size:           8
        .value_kind:     by_value
      - .actual_access:  read_only
        .address_space:  global
        .offset:         40
        .size:           8
        .value_kind:     global_buffer
      - .actual_access:  read_only
        .address_space:  global
        .offset:         48
        .size:           8
        .value_kind:     global_buffer
      - .offset:         56
        .size:           4
        .value_kind:     by_value
      - .actual_access:  read_only
        .address_space:  global
        .offset:         64
        .size:           8
        .value_kind:     global_buffer
      - .actual_access:  read_only
        .address_space:  global
        .offset:         72
        .size:           8
        .value_kind:     global_buffer
      - .address_space:  global
        .offset:         80
        .size:           8
        .value_kind:     global_buffer
    .group_segment_fixed_size: 0
    .kernarg_segment_align: 8
    .kernarg_segment_size: 88
    .language:       OpenCL C
    .language_version:
      - 2
      - 0
    .max_flat_workgroup_size: 135
    .name:           fft_rtc_fwd_len4050_factors_10_5_3_3_3_3_wgs_135_tpt_135_halfLds_sp_ip_CI_sbrr_dirReg
    .private_segment_fixed_size: 0
    .sgpr_count:     37
    .sgpr_spill_count: 0
    .symbol:         fft_rtc_fwd_len4050_factors_10_5_3_3_3_3_wgs_135_tpt_135_halfLds_sp_ip_CI_sbrr_dirReg.kd
    .uniform_work_group_size: 1
    .uses_dynamic_stack: false
    .vgpr_count:     171
    .vgpr_spill_count: 0
    .wavefront_size: 32
    .workgroup_processor_mode: 1
amdhsa.target:   amdgcn-amd-amdhsa--gfx1201
amdhsa.version:
  - 1
  - 2
...

	.end_amdgpu_metadata
